;; amdgpu-corpus repo=ROCm/rocFFT kind=compiled arch=gfx906 opt=O3
	.text
	.amdgcn_target "amdgcn-amd-amdhsa--gfx906"
	.amdhsa_code_object_version 6
	.protected	bluestein_single_back_len1728_dim1_dp_op_CI_CI ; -- Begin function bluestein_single_back_len1728_dim1_dp_op_CI_CI
	.globl	bluestein_single_back_len1728_dim1_dp_op_CI_CI
	.p2align	8
	.type	bluestein_single_back_len1728_dim1_dp_op_CI_CI,@function
bluestein_single_back_len1728_dim1_dp_op_CI_CI: ; @bluestein_single_back_len1728_dim1_dp_op_CI_CI
; %bb.0:
	s_load_dwordx4 s[12:15], s[4:5], 0x28
	s_mov_b64 s[26:27], s[2:3]
	v_mul_u32_u24_e32 v1, 0x25f, v0
	s_mov_b64 s[24:25], s[0:1]
	v_add_u32_sdwa v4, s6, v1 dst_sel:DWORD dst_unused:UNUSED_PAD src0_sel:DWORD src1_sel:WORD_1
	v_mov_b32_e32 v5, 0
	s_add_u32 s24, s24, s7
	s_waitcnt lgkmcnt(0)
	v_cmp_gt_u64_e32 vcc, s[12:13], v[4:5]
	s_addc_u32 s25, s25, 0
	s_and_saveexec_b64 s[0:1], vcc
	s_cbranch_execz .LBB0_31
; %bb.1:
	s_load_dwordx4 s[0:3], s[4:5], 0x18
	s_load_dwordx2 s[12:13], s[4:5], 0x0
	v_mov_b32_e32 v5, v4
	s_movk_i32 s6, 0x2000
	s_waitcnt lgkmcnt(0)
	s_load_dwordx4 s[8:11], s[0:1], 0x0
	s_movk_i32 s0, 0x6c
	v_mul_lo_u16_sdwa v1, v1, s0 dst_sel:DWORD dst_unused:UNUSED_PAD src0_sel:WORD_1 src1_sel:DWORD
	v_sub_u16_e32 v216, v0, v1
	buffer_store_dword v5, off, s[24:27], 0 offset:92 ; 4-byte Folded Spill
	s_nop 0
	buffer_store_dword v6, off, s[24:27], 0 offset:96 ; 4-byte Folded Spill
	s_waitcnt lgkmcnt(0)
	v_mad_u64_u32 v[0:1], s[0:1], s10, v4, 0
	v_mad_u64_u32 v[2:3], s[0:1], s8, v216, 0
	v_or_b32_e32 v18, 0x480, v216
	v_lshlrev_b32_e32 v100, 4, v216
	v_mad_u64_u32 v[4:5], s[0:1], s11, v4, v[1:2]
	v_lshlrev_b32_e32 v54, 4, v18
	v_mad_u64_u32 v[5:6], s[0:1], s9, v216, v[3:4]
	v_mov_b32_e32 v1, v4
	v_lshlrev_b64 v[0:1], 4, v[0:1]
	v_mov_b32_e32 v6, s15
	v_mov_b32_e32 v3, v5
	v_add_co_u32_e32 v14, vcc, s14, v0
	v_addc_co_u32_e32 v15, vcc, v6, v1, vcc
	v_lshlrev_b64 v[0:1], 4, v[2:3]
	s_mul_i32 s0, s9, 0x240
	s_mul_hi_u32 s1, s8, 0x240
	v_add_co_u32_e32 v0, vcc, v14, v0
	s_add_i32 s1, s1, s0
	s_mul_i32 s0, s8, 0x240
	v_addc_co_u32_e32 v1, vcc, v15, v1, vcc
	s_lshl_b64 s[14:15], s[0:1], 4
	v_mad_u64_u32 v[4:5], s[0:1], s8, v18, 0
	v_mov_b32_e32 v2, s13
	v_add_co_u32_e32 v67, vcc, s12, v100
	v_addc_co_u32_e32 v68, vcc, 0, v2, vcc
	v_mov_b32_e32 v63, s15
	v_add_co_u32_e32 v2, vcc, s14, v0
	v_addc_co_u32_e32 v3, vcc, v1, v63, vcc
	global_load_dwordx4 v[6:9], v[0:1], off
	global_load_dwordx4 v[10:13], v[2:3], off
	v_mov_b32_e32 v0, v5
	v_mad_u64_u32 v[0:1], s[0:1], s9, v18, v[0:1]
	v_add_co_u32_e32 v22, vcc, s6, v67
	v_mov_b32_e32 v5, v0
	v_lshlrev_b64 v[0:1], 4, v[4:5]
	v_addc_co_u32_e32 v23, vcc, 0, v68, vcc
	v_add_co_u32_e32 v0, vcc, v14, v0
	v_addc_co_u32_e32 v1, vcc, v15, v1, vcc
	global_load_dwordx4 v[14:17], v[0:1], off
	v_mov_b32_e32 v0, 0xffffe2c0
	v_mad_u64_u32 v[0:1], s[0:1], s8, v0, v[2:3]
	s_mul_i32 s0, s9, 0xffffe2c0
	s_sub_i32 s0, s0, s8
	buffer_store_dword v18, off, s[24:27], 0 offset:8 ; 4-byte Folded Spill
	global_load_dwordx4 v[79:82], v54, s[12:13]
	v_add_u32_e32 v1, s0, v1
	global_load_dwordx4 v[18:21], v[0:1], off
	global_load_dwordx4 v[137:140], v100, s[12:13]
	global_load_dwordx4 v[83:86], v100, s[12:13] offset:1728
	global_load_dwordx4 v[95:98], v[22:23], off offset:1024
	global_load_dwordx4 v[87:90], v[22:23], off offset:2752
	v_add_co_u32_e32 v0, vcc, s14, v0
	v_addc_co_u32_e32 v1, vcc, v1, v63, vcc
	v_add_co_u32_e32 v2, vcc, s14, v0
	v_addc_co_u32_e32 v3, vcc, v1, v63, vcc
	s_movk_i32 s0, 0x4000
	s_mul_hi_u32 s1, s8, 0xfffffbec
	global_load_dwordx4 v[22:25], v[0:1], off
	global_load_dwordx4 v[26:29], v[2:3], off
	v_add_co_u32_e32 v0, vcc, s0, v67
	s_mul_i32 s0, s9, 0xfffffbec
	s_sub_i32 s1, s1, s8
	s_add_i32 s1, s1, s0
	s_mul_i32 s0, s8, 0xfffffbec
	v_addc_co_u32_e32 v1, vcc, 0, v68, vcc
	s_lshl_b64 s[16:17], s[0:1], 4
	v_mov_b32_e32 v57, s17
	v_add_co_u32_e32 v2, vcc, s16, v2
	v_addc_co_u32_e32 v3, vcc, v3, v57, vcc
	global_load_dwordx4 v[91:94], v[0:1], off offset:3776
	global_load_dwordx4 v[30:33], v[2:3], off
	global_load_dwordx4 v[101:104], v100, s[12:13] offset:3456
	v_add_co_u32_e32 v2, vcc, s14, v2
	v_addc_co_u32_e32 v3, vcc, v3, v63, vcc
	s_movk_i32 s0, 0x3000
	v_add_co_u32_e32 v4, vcc, s0, v67
	v_addc_co_u32_e32 v5, vcc, 0, v68, vcc
	global_load_dwordx4 v[34:37], v[2:3], off
	v_add_co_u32_e32 v2, vcc, s14, v2
	v_addc_co_u32_e32 v3, vcc, v3, v63, vcc
	s_movk_i32 s0, 0x5000
	v_add_co_u32_e32 v55, vcc, s0, v67
	v_addc_co_u32_e32 v56, vcc, 0, v68, vcc
	global_load_dwordx4 v[38:41], v[2:3], off
	v_add_co_u32_e32 v2, vcc, s16, v2
	v_addc_co_u32_e32 v3, vcc, v3, v57, vcc
	s_movk_i32 s0, 0x1000
	v_add_co_u32_e32 v59, vcc, s0, v67
	v_addc_co_u32_e32 v60, vcc, 0, v68, vcc
	global_load_dwordx4 v[42:45], v[2:3], off
	v_add_co_u32_e32 v2, vcc, s14, v2
	v_addc_co_u32_e32 v3, vcc, v3, v63, vcc
	global_load_dwordx4 v[46:49], v[2:3], off
	global_load_dwordx4 v[121:124], v[4:5], off offset:384
	global_load_dwordx4 v[105:108], v[4:5], off offset:2112
	v_add_co_u32_e32 v2, vcc, s14, v2
	v_addc_co_u32_e32 v3, vcc, v3, v63, vcc
	global_load_dwordx4 v[50:53], v[2:3], off
	global_load_dwordx4 v[129:132], v[55:56], off offset:1408
	global_load_dwordx4 v[113:116], v[55:56], off offset:3136
	;; [unrolled: 5-line block ×3, first 2 shown]
	v_add_co_u32_e32 v2, vcc, s14, v2
	v_addc_co_u32_e32 v3, vcc, v3, v63, vcc
	global_load_dwordx4 v[59:62], v[2:3], off
	global_load_dwordx4 v[117:120], v[4:5], off offset:3840
	v_add_co_u32_e32 v4, vcc, s14, v2
	v_addc_co_u32_e32 v5, vcc, v3, v63, vcc
	s_movk_i32 s0, 0x6000
	v_add_co_u32_e32 v2, vcc, s0, v67
	buffer_store_dword v67, off, s[24:27], 0 ; 4-byte Folded Spill
	buffer_store_dword v68, off, s[24:27], 0 offset:4 ; 4-byte Folded Spill
	v_addc_co_u32_e32 v3, vcc, 0, v68, vcc
	s_waitcnt vmcnt(24)
	v_mul_f64 v[67:68], v[8:9], v[139:140]
	s_waitcnt vmcnt(22)
	v_mul_f64 v[71:72], v[12:13], v[97:98]
	v_mul_f64 v[75:76], v[16:17], v[81:82]
	global_load_dwordx4 v[63:66], v[4:5], off
	global_load_dwordx4 v[125:128], v[2:3], off offset:768
	v_mul_f64 v[69:70], v[6:7], v[139:140]
	v_mul_f64 v[73:74], v[10:11], v[97:98]
	;; [unrolled: 1-line block ×3, first 2 shown]
	v_fma_f64 v[6:7], v[6:7], v[137:138], v[67:68]
	buffer_store_dword v137, off, s[24:27], 0 offset:248 ; 4-byte Folded Spill
	s_nop 0
	buffer_store_dword v138, off, s[24:27], 0 offset:252 ; 4-byte Folded Spill
	buffer_store_dword v139, off, s[24:27], 0 offset:256 ; 4-byte Folded Spill
	buffer_store_dword v140, off, s[24:27], 0 offset:260 ; 4-byte Folded Spill
	v_fma_f64 v[10:11], v[10:11], v[95:96], v[71:72]
	buffer_store_dword v95, off, s[24:27], 0 offset:76 ; 4-byte Folded Spill
	s_nop 0
	buffer_store_dword v96, off, s[24:27], 0 offset:80 ; 4-byte Folded Spill
	buffer_store_dword v97, off, s[24:27], 0 offset:84 ; 4-byte Folded Spill
	buffer_store_dword v98, off, s[24:27], 0 offset:88 ; 4-byte Folded Spill
	;; [unrolled: 6-line block ×3, first 2 shown]
	v_mul_f64 v[67:68], v[20:21], v[85:86]
	s_waitcnt vmcnt(34)
	v_mul_f64 v[71:72], v[24:25], v[89:90]
	s_load_dwordx2 s[6:7], s[4:5], 0x38
	s_waitcnt vmcnt(32)
	v_mul_f64 v[75:76], v[28:29], v[93:94]
	s_waitcnt vmcnt(30)
	v_mul_f64 v[81:82], v[30:31], v[103:104]
	v_cmp_gt_u16_e64 s[0:1], 36, v216
	v_fma_f64 v[8:9], v[8:9], v[137:138], -v[69:70]
	v_mul_f64 v[69:70], v[18:19], v[85:86]
	v_fma_f64 v[18:19], v[18:19], v[83:84], v[67:68]
	buffer_store_dword v83, off, s[24:27], 0 offset:28 ; 4-byte Folded Spill
	s_nop 0
	buffer_store_dword v84, off, s[24:27], 0 offset:32 ; 4-byte Folded Spill
	buffer_store_dword v85, off, s[24:27], 0 offset:36 ; 4-byte Folded Spill
	;; [unrolled: 1-line block ×3, first 2 shown]
	v_fma_f64 v[16:17], v[16:17], v[79:80], -v[77:78]
	v_mul_f64 v[79:80], v[32:33], v[103:104]
	v_fma_f64 v[12:13], v[12:13], v[95:96], -v[73:74]
	v_mul_f64 v[73:74], v[22:23], v[89:90]
	v_fma_f64 v[22:23], v[22:23], v[87:88], v[71:72]
	buffer_store_dword v87, off, s[24:27], 0 offset:44 ; 4-byte Folded Spill
	s_nop 0
	buffer_store_dword v88, off, s[24:27], 0 offset:48 ; 4-byte Folded Spill
	buffer_store_dword v89, off, s[24:27], 0 offset:52 ; 4-byte Folded Spill
	;; [unrolled: 1-line block ×3, first 2 shown]
	v_mul_f64 v[77:78], v[26:27], v[93:94]
	v_fma_f64 v[26:27], v[26:27], v[91:92], v[75:76]
	buffer_store_dword v91, off, s[24:27], 0 offset:60 ; 4-byte Folded Spill
	s_nop 0
	buffer_store_dword v92, off, s[24:27], 0 offset:64 ; 4-byte Folded Spill
	buffer_store_dword v93, off, s[24:27], 0 offset:68 ; 4-byte Folded Spill
	;; [unrolled: 1-line block ×3, first 2 shown]
	v_fma_f64 v[30:31], v[30:31], v[101:102], v[79:80]
	buffer_store_dword v101, off, s[24:27], 0 offset:100 ; 4-byte Folded Spill
	s_nop 0
	buffer_store_dword v102, off, s[24:27], 0 offset:104 ; 4-byte Folded Spill
	buffer_store_dword v103, off, s[24:27], 0 offset:108 ; 4-byte Folded Spill
	;; [unrolled: 1-line block ×3, first 2 shown]
	s_load_dwordx4 s[8:11], s[2:3], 0x0
	v_fma_f64 v[20:21], v[20:21], v[83:84], -v[69:70]
	v_fma_f64 v[24:25], v[24:25], v[87:88], -v[73:74]
	v_fma_f64 v[28:29], v[28:29], v[91:92], -v[77:78]
	v_fma_f64 v[32:33], v[32:33], v[101:102], -v[81:82]
	ds_write_b128 v100, v[6:9]
	ds_write_b128 v100, v[10:13] offset:9216
	ds_write_b128 v100, v[14:17] offset:18432
	;; [unrolled: 1-line block ×6, first 2 shown]
	s_waitcnt vmcnt(41)
	v_mul_f64 v[6:7], v[36:37], v[123:124]
	v_mul_f64 v[8:9], v[34:35], v[123:124]
	s_waitcnt vmcnt(38)
	v_mul_f64 v[10:11], v[40:41], v[131:132]
	s_waitcnt vmcnt(35)
	v_mul_f64 v[14:15], v[44:45], v[135:136]
	v_mul_f64 v[18:19], v[48:49], v[107:108]
	;; [unrolled: 1-line block ×3, first 2 shown]
	s_waitcnt vmcnt(34)
	v_mul_f64 v[26:27], v[57:58], v[111:112]
	s_waitcnt vmcnt(32)
	v_mul_f64 v[30:31], v[61:62], v[119:120]
	v_fma_f64 v[6:7], v[34:35], v[121:122], v[6:7]
	buffer_store_dword v121, off, s[24:27], 0 offset:184 ; 4-byte Folded Spill
	s_nop 0
	buffer_store_dword v122, off, s[24:27], 0 offset:188 ; 4-byte Folded Spill
	buffer_store_dword v123, off, s[24:27], 0 offset:192 ; 4-byte Folded Spill
	;; [unrolled: 1-line block ×3, first 2 shown]
	s_waitcnt vmcnt(32)
	v_mul_f64 v[34:35], v[65:66], v[127:128]
	v_mul_f64 v[12:13], v[38:39], v[131:132]
	v_fma_f64 v[10:11], v[38:39], v[129:130], v[10:11]
	buffer_store_dword v129, off, s[24:27], 0 offset:216 ; 4-byte Folded Spill
	s_nop 0
	buffer_store_dword v130, off, s[24:27], 0 offset:220 ; 4-byte Folded Spill
	buffer_store_dword v131, off, s[24:27], 0 offset:224 ; 4-byte Folded Spill
	buffer_store_dword v132, off, s[24:27], 0 offset:228 ; 4-byte Folded Spill
	v_mul_f64 v[16:17], v[42:43], v[135:136]
	v_fma_f64 v[14:15], v[42:43], v[133:134], v[14:15]
	buffer_store_dword v133, off, s[24:27], 0 offset:232 ; 4-byte Folded Spill
	s_nop 0
	buffer_store_dword v134, off, s[24:27], 0 offset:236 ; 4-byte Folded Spill
	buffer_store_dword v135, off, s[24:27], 0 offset:240 ; 4-byte Folded Spill
	buffer_store_dword v136, off, s[24:27], 0 offset:244 ; 4-byte Folded Spill
	;; [unrolled: 7-line block ×6, first 2 shown]
	v_fma_f64 v[34:35], v[63:64], v[125:126], v[34:35]
	v_fma_f64 v[8:9], v[36:37], v[121:122], -v[8:9]
	v_mul_f64 v[36:37], v[63:64], v[127:128]
	buffer_store_dword v125, off, s[24:27], 0 offset:200 ; 4-byte Folded Spill
	s_nop 0
	buffer_store_dword v126, off, s[24:27], 0 offset:204 ; 4-byte Folded Spill
	buffer_store_dword v127, off, s[24:27], 0 offset:208 ; 4-byte Folded Spill
	;; [unrolled: 1-line block ×3, first 2 shown]
	v_fma_f64 v[12:13], v[40:41], v[129:130], -v[12:13]
	v_fma_f64 v[16:17], v[44:45], v[133:134], -v[16:17]
	;; [unrolled: 1-line block ×7, first 2 shown]
	ds_write_b128 v100, v[6:9] offset:12672
	ds_write_b128 v100, v[10:13] offset:21888
	;; [unrolled: 1-line block ×8, first 2 shown]
	s_and_saveexec_b64 s[2:3], s[0:1]
	s_cbranch_execz .LBB0_3
; %bb.2:
	buffer_load_dword v8, off, s[24:27], 0  ; 4-byte Folded Reload
	buffer_load_dword v9, off, s[24:27], 0 offset:4 ; 4-byte Folded Reload
	v_mov_b32_e32 v6, s17
	v_add_co_u32_e32 v12, vcc, s16, v4
	v_addc_co_u32_e32 v13, vcc, v5, v6, vcc
	v_mov_b32_e32 v18, s15
	global_load_dwordx4 v[4:7], v[12:13], off
	s_waitcnt vmcnt(2)
	v_add_co_u32_e32 v8, vcc, 0x2000, v8
	s_waitcnt vmcnt(1)
	v_addc_co_u32_e32 v9, vcc, 0, v9, vcc
	v_add_co_u32_e32 v16, vcc, s14, v12
	global_load_dwordx4 v[8:11], v[8:9], off offset:448
	v_addc_co_u32_e32 v17, vcc, v13, v18, vcc
	global_load_dwordx4 v[12:15], v[16:17], off
	v_add_co_u32_e32 v28, vcc, s14, v16
	v_addc_co_u32_e32 v29, vcc, v17, v18, vcc
	global_load_dwordx4 v[16:19], v[0:1], off offset:1472
	global_load_dwordx4 v[20:23], v[2:3], off offset:2496
	global_load_dwordx4 v[24:27], v[28:29], off
	s_waitcnt vmcnt(4)
	v_mul_f64 v[0:1], v[6:7], v[10:11]
	v_mul_f64 v[2:3], v[4:5], v[10:11]
	s_waitcnt vmcnt(2)
	v_mul_f64 v[10:11], v[14:15], v[18:19]
	v_mul_f64 v[18:19], v[12:13], v[18:19]
	;; [unrolled: 3-line block ×3, first 2 shown]
	v_fma_f64 v[0:1], v[4:5], v[8:9], v[0:1]
	v_fma_f64 v[2:3], v[6:7], v[8:9], -v[2:3]
	v_fma_f64 v[4:5], v[12:13], v[16:17], v[10:11]
	v_fma_f64 v[6:7], v[14:15], v[16:17], -v[18:19]
	;; [unrolled: 2-line block ×3, first 2 shown]
	ds_write_b128 v100, v[0:3] offset:8640
	ds_write_b128 v100, v[4:7] offset:17856
	;; [unrolled: 1-line block ×3, first 2 shown]
.LBB0_3:
	s_or_b64 exec, exec, s[2:3]
	s_waitcnt vmcnt(0) lgkmcnt(0)
	s_barrier
	ds_read_b128 v[76:79], v100
	ds_read_b128 v[40:43], v100 offset:1728
	ds_read_b128 v[72:75], v100 offset:18432
	;; [unrolled: 1-line block ×14, first 2 shown]
                                        ; implicit-def: $vgpr4_vgpr5
                                        ; implicit-def: $vgpr16_vgpr17
                                        ; implicit-def: $vgpr20_vgpr21
	s_and_saveexec_b64 s[2:3], s[0:1]
	s_cbranch_execz .LBB0_5
; %bb.4:
	ds_read_b128 v[4:7], v100 offset:8640
	ds_read_b128 v[16:19], v100 offset:17856
	;; [unrolled: 1-line block ×3, first 2 shown]
.LBB0_5:
	s_or_b64 exec, exec, s[2:3]
	s_waitcnt lgkmcnt(4)
	v_add_f64 v[52:53], v[48:49], v[72:73]
	v_add_f64 v[57:58], v[76:77], v[48:49]
	v_add_f64 v[80:81], v[50:51], -v[74:75]
	s_movk_i32 s2, 0x6c
	v_add_co_u32_e32 v56, vcc, s2, v216
	s_movk_i32 s2, 0xd8
	v_add_co_u32_e32 v55, vcc, s2, v216
	v_fma_f64 v[52:53], v[52:53], -0.5, v[76:77]
	s_movk_i32 s2, 0x21c
	v_add_f64 v[82:83], v[50:51], v[74:75]
	v_add_f64 v[50:51], v[78:79], v[50:51]
	v_add_co_u32_e32 v92, vcc, s2, v216
	s_mov_b32 s2, 0xe8584caa
	s_mov_b32 s3, 0x3febb67a
	;; [unrolled: 1-line block ×4, first 2 shown]
	v_add_f64 v[76:77], v[57:58], v[72:73]
	v_fma_f64 v[84:85], v[80:81], s[2:3], v[52:53]
	v_add_f64 v[57:58], v[44:45], v[36:37]
	v_add_f64 v[72:73], v[48:49], -v[72:73]
	v_fma_f64 v[48:49], v[80:81], s[14:15], v[52:53]
	v_add_f64 v[52:53], v[40:41], v[44:45]
	v_fma_f64 v[82:83], v[82:83], -0.5, v[78:79]
	v_add_f64 v[78:79], v[50:51], v[74:75]
	v_add_f64 v[74:75], v[46:47], v[38:39]
	v_add_f64 v[80:81], v[46:47], -v[38:39]
	v_fma_f64 v[57:58], v[57:58], -0.5, v[40:41]
	v_add_f64 v[46:47], v[42:43], v[46:47]
	s_waitcnt lgkmcnt(0)
	v_add_f64 v[88:89], v[12:13], v[0:1]
	v_add_f64 v[40:41], v[52:53], v[36:37]
	;; [unrolled: 1-line block ×3, first 2 shown]
	v_fma_f64 v[86:87], v[72:73], s[14:15], v[82:83]
	v_fma_f64 v[50:51], v[72:73], s[2:3], v[82:83]
	v_fma_f64 v[72:73], v[74:75], -0.5, v[42:43]
	v_add_f64 v[74:75], v[44:45], -v[36:37]
	v_fma_f64 v[36:37], v[80:81], s[2:3], v[57:58]
	v_fma_f64 v[44:45], v[80:81], s[14:15], v[57:58]
	v_add_f64 v[57:58], v[68:69], v[60:61]
	v_add_f64 v[80:81], v[62:63], v[66:67]
	v_fma_f64 v[52:53], v[52:53], -0.5, v[68:69]
	v_add_f64 v[82:83], v[62:63], -v[66:67]
	v_add_f64 v[62:63], v[70:71], v[62:63]
	v_add_f64 v[42:43], v[46:47], v[38:39]
	v_fma_f64 v[38:39], v[74:75], s[14:15], v[72:73]
	v_fma_f64 v[46:47], v[74:75], s[2:3], v[72:73]
	v_add_f64 v[74:75], v[32:33], v[24:25]
	v_add_f64 v[57:58], v[57:58], v[64:65]
	v_fma_f64 v[80:81], v[80:81], -0.5, v[70:71]
	v_add_f64 v[64:65], v[60:61], -v[64:65]
	v_fma_f64 v[68:69], v[82:83], s[2:3], v[52:53]
	v_fma_f64 v[72:73], v[82:83], s[14:15], v[52:53]
	v_add_f64 v[59:60], v[62:63], v[66:67]
	v_add_f64 v[52:53], v[34:35], v[26:27]
	;; [unrolled: 1-line block ×3, first 2 shown]
	v_fma_f64 v[66:67], v[74:75], -0.5, v[28:29]
	v_add_f64 v[82:83], v[34:35], -v[26:27]
	v_fma_f64 v[70:71], v[64:65], s[14:15], v[80:81]
	v_fma_f64 v[74:75], v[64:65], s[2:3], v[80:81]
	v_add_f64 v[34:35], v[30:31], v[34:35]
	v_add_f64 v[63:64], v[32:33], -v[24:25]
	v_fma_f64 v[52:53], v[52:53], -0.5, v[30:31]
	v_add_f64 v[24:25], v[61:62], v[24:25]
	v_add_f64 v[61:62], v[8:9], v[12:13]
	v_fma_f64 v[8:9], v[88:89], -0.5, v[8:9]
	v_add_f64 v[80:81], v[14:15], -v[2:3]
	v_fma_f64 v[28:29], v[82:83], s[2:3], v[66:67]
	v_fma_f64 v[32:33], v[82:83], s[14:15], v[66:67]
	v_add_f64 v[66:67], v[14:15], v[2:3]
	v_add_f64 v[26:27], v[34:35], v[26:27]
	v_fma_f64 v[30:31], v[63:64], s[14:15], v[52:53]
	v_fma_f64 v[34:35], v[63:64], s[2:3], v[52:53]
	v_add_f64 v[52:53], v[16:17], v[20:21]
	v_fma_f64 v[116:117], v[80:81], s[2:3], v[8:9]
	v_fma_f64 v[136:137], v[80:81], s[14:15], v[8:9]
	v_add_f64 v[8:9], v[18:19], v[22:23]
	v_add_f64 v[64:65], v[61:62], v[0:1]
	;; [unrolled: 1-line block ×3, first 2 shown]
	v_fma_f64 v[10:11], v[66:67], -0.5, v[10:11]
	v_add_f64 v[0:1], v[12:13], -v[0:1]
	v_add_f64 v[12:13], v[4:5], v[16:17]
	v_fma_f64 v[4:5], v[52:53], -0.5, v[4:5]
	v_add_f64 v[52:53], v[18:19], -v[22:23]
	v_add_f64 v[18:19], v[6:7], v[18:19]
	v_fma_f64 v[6:7], v[8:9], -0.5, v[6:7]
	v_add_f64 v[8:9], v[16:17], -v[20:21]
	v_add_f64 v[66:67], v[14:15], v[2:3]
	v_fma_f64 v[118:119], v[0:1], s[14:15], v[10:11]
	v_fma_f64 v[138:139], v[0:1], s[2:3], v[10:11]
	v_mul_lo_u16_e32 v0, 3, v216
	v_lshlrev_b32_e32 v0, 4, v0
	s_barrier
	ds_write_b128 v0, v[76:79]
	ds_write_b128 v0, v[84:87] offset:16
	buffer_store_dword v0, off, s[24:27], 0 offset:288 ; 4-byte Folded Spill
	ds_write_b128 v0, v[48:51] offset:32
	v_mul_u32_u24_e32 v0, 3, v56
	v_add_f64 v[140:141], v[12:13], v[20:21]
	v_fma_f64 v[144:145], v[52:53], s[2:3], v[4:5]
	v_fma_f64 v[80:81], v[52:53], s[14:15], v[4:5]
	v_add_f64 v[142:143], v[18:19], v[22:23]
	v_fma_f64 v[146:147], v[8:9], s[14:15], v[6:7]
	v_fma_f64 v[82:83], v[8:9], s[2:3], v[6:7]
	v_lshlrev_b32_e32 v0, 4, v0
	ds_write_b128 v0, v[40:43]
	ds_write_b128 v0, v[36:39] offset:16
	buffer_store_dword v0, off, s[24:27], 0 offset:292 ; 4-byte Folded Spill
	ds_write_b128 v0, v[44:47] offset:32
	v_mul_u32_u24_e32 v0, 3, v55
	v_add_u32_e32 v90, 0x144, v216
	v_lshlrev_b32_e32 v0, 4, v0
	s_load_dwordx2 s[4:5], s[4:5], 0x8
	ds_write_b128 v0, v[57:60]
	ds_write_b128 v0, v[68:71] offset:16
	buffer_store_dword v0, off, s[24:27], 0 offset:296 ; 4-byte Folded Spill
	ds_write_b128 v0, v[72:75] offset:32
	v_mul_u32_u24_e32 v0, 3, v90
	v_add_u32_e32 v91, 0x1b0, v216
	v_lshlrev_b32_e32 v0, 4, v0
	ds_write_b128 v0, v[24:27]
	ds_write_b128 v0, v[28:31] offset:16
	buffer_store_dword v0, off, s[24:27], 0 offset:300 ; 4-byte Folded Spill
	ds_write_b128 v0, v[32:35] offset:32
	v_mul_u32_u24_e32 v0, 3, v91
	v_lshlrev_b32_e32 v0, 4, v0
	ds_write_b128 v0, v[64:67]
	ds_write_b128 v0, v[116:119] offset:16
	buffer_store_dword v0, off, s[24:27], 0 offset:304 ; 4-byte Folded Spill
	ds_write_b128 v0, v[136:139] offset:32
	v_mul_u32_u24_e32 v0, 3, v92
	buffer_store_dword v0, off, s[24:27], 0 offset:308 ; 4-byte Folded Spill
	s_and_saveexec_b64 s[2:3], s[0:1]
	s_cbranch_execz .LBB0_7
; %bb.6:
	buffer_load_dword v0, off, s[24:27], 0 offset:308 ; 4-byte Folded Reload
	s_waitcnt vmcnt(0)
	v_lshlrev_b32_e32 v0, 4, v0
	ds_write_b128 v0, v[140:143]
	ds_write_b128 v0, v[144:147] offset:16
	ds_write_b128 v0, v[80:83] offset:32
.LBB0_7:
	s_or_b64 exec, exec, s[2:3]
	s_waitcnt vmcnt(0) lgkmcnt(0)
	s_barrier
	ds_read_b128 v[92:95], v100
	ds_read_b128 v[76:79], v100 offset:1728
	ds_read_b128 v[36:39], v100 offset:4608
	;; [unrolled: 1-line block ×11, first 2 shown]
	s_movk_i32 s2, 0x48
	v_cmp_gt_u16_e64 s[2:3], s2, v216
	s_and_saveexec_b64 s[14:15], s[2:3]
	s_cbranch_execz .LBB0_9
; %bb.8:
	ds_read_b128 v[64:67], v100 offset:3456
	ds_read_b128 v[116:119], v100 offset:8064
	;; [unrolled: 1-line block ×6, first 2 shown]
.LBB0_9:
	s_or_b64 exec, exec, s[14:15]
	s_movk_i32 s16, 0xab
	v_mul_lo_u16_sdwa v40, v216, s16 dst_sel:DWORD dst_unused:UNUSED_PAD src0_sel:BYTE_0 src1_sel:DWORD
	v_lshrrev_b16_e32 v57, 9, v40
	v_mul_lo_u16_e32 v40, 3, v57
	v_sub_u16_e32 v40, v216, v40
	v_and_b32_e32 v59, 0xff, v40
	v_mov_b32_e32 v41, s5
	s_movk_i32 s17, 0x50
	v_mov_b32_e32 v40, s4
	v_mad_u64_u32 v[42:43], s[14:15], v59, s17, v[40:41]
	global_load_dwordx4 v[84:87], v[42:43], off offset:48
	global_load_dwordx4 v[104:107], v[42:43], off offset:32
	;; [unrolled: 1-line block ×3, first 2 shown]
	global_load_dwordx4 v[112:115], v[42:43], off
	global_load_dwordx4 v[96:99], v[42:43], off offset:64
	s_waitcnt vmcnt(1) lgkmcnt(9)
	v_mul_f64 v[44:45], v[38:39], v[114:115]
	v_fma_f64 v[149:150], v[36:37], v[112:113], -v[44:45]
	v_mul_f64 v[36:37], v[36:37], v[114:115]
	v_fma_f64 v[46:47], v[38:39], v[112:113], v[36:37]
	s_waitcnt lgkmcnt(7)
	v_mul_f64 v[36:37], v[34:35], v[110:111]
	v_fma_f64 v[151:152], v[32:33], v[108:109], -v[36:37]
	v_mul_f64 v[32:33], v[32:33], v[110:111]
	v_fma_f64 v[153:154], v[34:35], v[108:109], v[32:33]
	s_waitcnt lgkmcnt(5)
	;; [unrolled: 5-line block ×3, first 2 shown]
	v_mul_f64 v[28:29], v[26:27], v[86:87]
	v_fma_f64 v[155:156], v[24:25], v[84:85], -v[28:29]
	v_mul_f64 v[24:25], v[24:25], v[86:87]
	v_fma_f64 v[157:158], v[26:27], v[84:85], v[24:25]
	s_waitcnt vmcnt(0) lgkmcnt(1)
	v_mul_f64 v[24:25], v[22:23], v[98:99]
	v_fma_f64 v[48:49], v[20:21], v[96:97], -v[24:25]
	v_mul_f64 v[20:21], v[20:21], v[98:99]
	v_fma_f64 v[52:53], v[22:23], v[96:97], v[20:21]
	v_mul_lo_u16_sdwa v20, v56, s16 dst_sel:DWORD dst_unused:UNUSED_PAD src0_sel:BYTE_0 src1_sel:DWORD
	v_lshrrev_b16_e32 v58, 9, v20
	v_mul_lo_u16_e32 v20, 3, v58
	v_sub_u16_e32 v20, v56, v20
	v_and_b32_e32 v101, 0xff, v20
	v_mad_u64_u32 v[22:23], s[14:15], v101, s17, v[40:41]
	global_load_dwordx4 v[30:33], v[22:23], off offset:48
	global_load_dwordx4 v[72:75], v[22:23], off offset:32
	;; [unrolled: 1-line block ×3, first 2 shown]
	global_load_dwordx4 v[60:63], v[22:23], off
	s_mov_b32 s14, 0xaaab
	s_mov_b32 s16, 0xe8584caa
	;; [unrolled: 1-line block ×4, first 2 shown]
	s_waitcnt vmcnt(0)
	v_mul_f64 v[20:21], v[18:19], v[62:63]
	v_fma_f64 v[20:21], v[16:17], v[60:61], -v[20:21]
	v_mul_f64 v[16:17], v[16:17], v[62:63]
	v_fma_f64 v[16:17], v[18:19], v[60:61], v[16:17]
	v_mul_f64 v[18:19], v[14:15], v[90:91]
	v_fma_f64 v[24:25], v[12:13], v[88:89], -v[18:19]
	v_mul_f64 v[12:13], v[12:13], v[90:91]
	v_fma_f64 v[26:27], v[14:15], v[88:89], v[12:13]
	;; [unrolled: 4-line block ×3, first 2 shown]
	v_mul_f64 v[10:11], v[6:7], v[32:33]
	v_fma_f64 v[28:29], v[4:5], v[30:31], -v[10:11]
	v_mul_f64 v[4:5], v[4:5], v[32:33]
	buffer_store_dword v30, off, s[24:27], 0 offset:272 ; 4-byte Folded Spill
	s_nop 0
	buffer_store_dword v31, off, s[24:27], 0 offset:276 ; 4-byte Folded Spill
	buffer_store_dword v32, off, s[24:27], 0 offset:280 ; 4-byte Folded Spill
	;; [unrolled: 1-line block ×3, first 2 shown]
	global_load_dwordx4 v[68:71], v[22:23], off offset:64
	v_fma_f64 v[30:31], v[6:7], v[30:31], v[4:5]
	s_waitcnt vmcnt(0) lgkmcnt(0)
	v_mul_f64 v[4:5], v[2:3], v[70:71]
	v_fma_f64 v[4:5], v[0:1], v[68:69], -v[4:5]
	v_mul_f64 v[0:1], v[0:1], v[70:71]
	v_fma_f64 v[6:7], v[2:3], v[68:69], v[0:1]
	v_mul_u32_u24_sdwa v0, v55, s14 dst_sel:DWORD dst_unused:UNUSED_PAD src0_sel:WORD_0 src1_sel:DWORD
	v_lshrrev_b32_e32 v103, 17, v0
	v_mul_lo_u16_e32 v0, 3, v103
	v_sub_u16_e32 v148, v55, v0
	v_mul_lo_u16_e32 v0, 0x50, v148
	v_add_co_u32_e32 v0, vcc, s4, v0
	v_mov_b32_e32 v1, s5
	v_addc_co_u32_e32 v1, vcc, 0, v1, vcc
	global_load_dwordx4 v[120:123], v[0:1], off offset:48
	global_load_dwordx4 v[124:127], v[0:1], off offset:32
	global_load_dwordx4 v[128:131], v[0:1], off offset:16
	global_load_dwordx4 v[132:135], v[0:1], off
	s_mov_b32 s14, s16
	s_waitcnt vmcnt(0)
	v_mul_f64 v[2:3], v[118:119], v[134:135]
	v_fma_f64 v[22:23], v[116:117], v[132:133], -v[2:3]
	v_mul_f64 v[2:3], v[116:117], v[134:135]
	v_fma_f64 v[10:11], v[118:119], v[132:133], v[2:3]
	v_mul_f64 v[2:3], v[138:139], v[130:131]
	v_fma_f64 v[32:33], v[136:137], v[128:129], -v[2:3]
	v_mul_f64 v[2:3], v[136:137], v[130:131]
	v_fma_f64 v[34:35], v[138:139], v[128:129], v[2:3]
	global_load_dwordx4 v[136:139], v[0:1], off offset:64
	v_mul_f64 v[2:3], v[142:143], v[126:127]
	s_waitcnt vmcnt(0)
	s_barrier
	v_fma_f64 v[14:15], v[140:141], v[124:125], -v[2:3]
	v_mul_f64 v[2:3], v[140:141], v[126:127]
	v_fma_f64 v[18:19], v[142:143], v[124:125], v[2:3]
	v_mul_f64 v[2:3], v[146:147], v[122:123]
	v_fma_f64 v[36:37], v[144:145], v[120:121], -v[2:3]
	v_mul_f64 v[2:3], v[144:145], v[122:123]
	v_fma_f64 v[40:41], v[146:147], v[120:121], v[2:3]
	v_add_f64 v[2:3], v[153:154], -v[157:158]
	v_mul_f64 v[0:1], v[82:83], v[138:139]
	v_fma_f64 v[38:39], v[80:81], v[136:137], -v[0:1]
	v_mul_f64 v[0:1], v[80:81], v[138:139]
	v_fma_f64 v[42:43], v[82:83], v[136:137], v[0:1]
	v_add_f64 v[0:1], v[92:93], v[151:152]
	v_add_f64 v[80:81], v[0:1], v[155:156]
	;; [unrolled: 1-line block ×3, first 2 shown]
	v_fma_f64 v[0:1], v[0:1], -0.5, v[92:93]
	v_fma_f64 v[82:83], v[2:3], s[16:17], v[0:1]
	v_fma_f64 v[116:117], v[2:3], s[14:15], v[0:1]
	v_add_f64 v[0:1], v[94:95], v[153:154]
	v_add_f64 v[2:3], v[151:152], -v[155:156]
	v_add_f64 v[118:119], v[0:1], v[157:158]
	v_add_f64 v[0:1], v[153:154], v[157:158]
	v_fma_f64 v[0:1], v[0:1], -0.5, v[94:95]
	v_fma_f64 v[94:95], v[2:3], s[14:15], v[0:1]
	v_fma_f64 v[142:143], v[2:3], s[16:17], v[0:1]
	v_add_f64 v[0:1], v[149:150], v[44:45]
	v_add_f64 v[2:3], v[50:51], -v[52:53]
	v_add_f64 v[92:93], v[0:1], v[48:49]
	v_add_f64 v[0:1], v[44:45], v[48:49]
	;; [unrolled: 7-line block ×3, first 2 shown]
	v_fma_f64 v[0:1], v[0:1], -0.5, v[46:47]
	v_fma_f64 v[46:47], v[2:3], s[14:15], v[0:1]
	v_fma_f64 v[50:51], v[2:3], s[16:17], v[0:1]
	v_add_f64 v[0:1], v[80:81], v[92:93]
	v_add_f64 v[80:81], v[80:81], -v[92:93]
	v_mul_f64 v[2:3], v[46:47], s[16:17]
	v_fma_f64 v[52:53], v[140:141], 0.5, v[2:3]
	v_mul_f64 v[2:3], v[144:145], -0.5
	v_mul_f64 v[140:141], v[140:141], s[14:15]
	v_add_f64 v[44:45], v[82:83], v[52:53]
	v_fma_f64 v[149:150], v[50:51], s[16:17], v[2:3]
	v_fma_f64 v[151:152], v[46:47], 0.5, v[140:141]
	v_add_f64 v[92:93], v[82:83], -v[52:53]
	v_add_f64 v[52:53], v[76:77], v[24:25]
	v_add_f64 v[2:3], v[118:119], v[146:147]
	v_add_f64 v[82:83], v[118:119], -v[146:147]
	v_mul_f64 v[50:51], v[50:51], -0.5
	v_add_f64 v[48:49], v[116:117], v[149:150]
	v_add_f64 v[140:141], v[116:117], -v[149:150]
	v_add_f64 v[116:117], v[24:25], v[28:29]
	v_add_f64 v[24:25], v[24:25], -v[28:29]
	;; [unrolled: 2-line block ×3, first 2 shown]
	v_fma_f64 v[144:145], v[144:145], s[14:15], v[50:51]
	v_add_f64 v[52:53], v[52:53], v[28:29]
	v_fma_f64 v[76:77], v[116:117], -0.5, v[76:77]
	v_add_f64 v[116:117], v[26:27], -v[30:31]
	v_add_f64 v[50:51], v[142:143], v[144:145]
	v_add_f64 v[142:143], v[142:143], -v[144:145]
	v_fma_f64 v[118:119], v[116:117], s[16:17], v[76:77]
	v_fma_f64 v[116:117], v[116:117], s[14:15], v[76:77]
	v_add_f64 v[76:77], v[78:79], v[26:27]
	v_add_f64 v[26:27], v[26:27], v[30:31]
	;; [unrolled: 1-line block ×3, first 2 shown]
	v_fma_f64 v[26:27], v[26:27], -0.5, v[78:79]
	v_fma_f64 v[151:152], v[24:25], s[14:15], v[26:27]
	v_fma_f64 v[153:154], v[24:25], s[16:17], v[26:27]
	v_add_f64 v[24:25], v[20:21], v[12:13]
	v_add_f64 v[76:77], v[24:25], v[4:5]
	;; [unrolled: 1-line block ×3, first 2 shown]
	v_add_f64 v[4:5], v[12:13], -v[4:5]
	v_fma_f64 v[20:21], v[24:25], -0.5, v[20:21]
	v_add_f64 v[24:25], v[8:9], -v[6:7]
	v_fma_f64 v[26:27], v[24:25], s[16:17], v[20:21]
	v_fma_f64 v[20:21], v[24:25], s[14:15], v[20:21]
	v_add_f64 v[24:25], v[16:17], v[8:9]
	v_add_f64 v[78:79], v[24:25], v[6:7]
	;; [unrolled: 1-line block ×3, first 2 shown]
	v_fma_f64 v[6:7], v[6:7], -0.5, v[16:17]
	v_fma_f64 v[8:9], v[4:5], s[14:15], v[6:7]
	v_fma_f64 v[12:13], v[4:5], s[16:17], v[6:7]
	v_add_f64 v[4:5], v[52:53], v[76:77]
	v_add_f64 v[76:77], v[52:53], -v[76:77]
	v_mul_f64 v[6:7], v[8:9], s[16:17]
	v_fma_f64 v[16:17], v[26:27], 0.5, v[6:7]
	v_mul_f64 v[6:7], v[20:21], -0.5
	v_mul_f64 v[26:27], v[26:27], s[14:15]
	v_add_f64 v[24:25], v[118:119], v[16:17]
	v_fma_f64 v[149:150], v[12:13], s[16:17], v[6:7]
	v_mul_f64 v[12:13], v[12:13], -0.5
	v_fma_f64 v[8:9], v[8:9], 0.5, v[26:27]
	v_add_f64 v[6:7], v[146:147], v[78:79]
	v_add_f64 v[78:79], v[146:147], -v[78:79]
	v_add_f64 v[144:145], v[118:119], -v[16:17]
	;; [unrolled: 1-line block ×3, first 2 shown]
	v_add_f64 v[28:29], v[116:117], v[149:150]
	v_fma_f64 v[12:13], v[20:21], s[14:15], v[12:13]
	v_add_f64 v[26:27], v[151:152], v[8:9]
	v_add_f64 v[146:147], v[151:152], -v[8:9]
	v_add_f64 v[8:9], v[64:65], v[32:33]
	v_add_f64 v[149:150], v[116:117], -v[149:150]
	;; [unrolled: 2-line block ×4, first 2 shown]
	v_add_f64 v[8:9], v[8:9], v[36:37]
	v_fma_f64 v[12:13], v[12:13], -0.5, v[64:65]
	v_fma_f64 v[20:21], v[16:17], s[16:17], v[12:13]
	v_fma_f64 v[12:13], v[16:17], s[14:15], v[12:13]
	v_add_f64 v[16:17], v[66:67], v[34:35]
	v_add_f64 v[34:35], v[34:35], v[40:41]
	;; [unrolled: 1-line block ×3, first 2 shown]
	v_fma_f64 v[34:35], v[34:35], -0.5, v[66:67]
	v_add_f64 v[40:41], v[14:15], v[38:39]
	v_fma_f64 v[36:37], v[32:33], s[14:15], v[34:35]
	v_fma_f64 v[32:33], v[32:33], s[16:17], v[34:35]
	v_add_f64 v[34:35], v[22:23], v[14:15]
	v_fma_f64 v[22:23], v[40:41], -0.5, v[22:23]
	v_add_f64 v[40:41], v[18:19], -v[42:43]
	v_add_f64 v[14:15], v[14:15], -v[38:39]
	v_add_f64 v[34:35], v[34:35], v[38:39]
	v_fma_f64 v[52:53], v[40:41], s[16:17], v[22:23]
	v_fma_f64 v[22:23], v[40:41], s[14:15], v[22:23]
	v_add_f64 v[40:41], v[10:11], v[18:19]
	v_add_f64 v[18:19], v[18:19], v[42:43]
	;; [unrolled: 1-line block ×3, first 2 shown]
	v_add_f64 v[200:201], v[8:9], -v[34:35]
	v_mul_u32_u24_e32 v8, 18, v57
	v_mul_f64 v[38:39], v[22:23], -0.5
	v_add_f64 v[40:41], v[40:41], v[42:43]
	v_fma_f64 v[10:11], v[18:19], -0.5, v[10:11]
	v_mul_f64 v[42:43], v[52:53], s[14:15]
	v_add_lshl_u32 v8, v8, v59, 4
	ds_write_b128 v8, v[0:3]
	ds_write_b128 v8, v[44:47] offset:48
	ds_write_b128 v8, v[48:51] offset:96
	;; [unrolled: 1-line block ×4, first 2 shown]
	v_mul_u32_u24_e32 v0, 18, v58
	v_add_lshl_u32 v102, v0, v101, 4
	v_mad_legacy_u16 v0, v103, 18, v148
	v_add_f64 v[182:183], v[16:17], v[40:41]
	v_fma_f64 v[18:19], v[14:15], s[14:15], v[10:11]
	v_fma_f64 v[10:11], v[14:15], s[16:17], v[10:11]
	v_add_f64 v[202:203], v[16:17], -v[40:41]
	buffer_store_dword v8, off, s[24:27], 0 offset:312 ; 4-byte Folded Spill
	ds_write_b128 v8, v[140:143] offset:240
	ds_write_b128 v102, v[4:7]
	ds_write_b128 v102, v[24:27] offset:48
	ds_write_b128 v102, v[28:31] offset:96
	;; [unrolled: 1-line block ×5, first 2 shown]
	buffer_store_dword v0, off, s[24:27], 0 offset:316 ; 4-byte Folded Spill
	v_mul_f64 v[14:15], v[18:19], s[16:17]
	v_fma_f64 v[38:39], v[10:11], s[16:17], v[38:39]
	v_mul_f64 v[10:11], v[10:11], -0.5
	v_fma_f64 v[18:19], v[18:19], 0.5, v[42:43]
	v_fma_f64 v[14:15], v[52:53], 0.5, v[14:15]
	v_add_f64 v[188:189], v[12:13], v[38:39]
	v_fma_f64 v[10:11], v[22:23], s[14:15], v[10:11]
	v_add_f64 v[118:119], v[36:37], v[18:19]
	v_add_f64 v[192:193], v[12:13], -v[38:39]
	v_add_f64 v[206:207], v[36:37], -v[18:19]
	v_add_f64 v[116:117], v[20:21], v[14:15]
	v_add_f64 v[204:205], v[20:21], -v[14:15]
	v_add_f64 v[190:191], v[32:33], v[10:11]
	v_add_f64 v[194:195], v[32:33], -v[10:11]
	s_and_saveexec_b64 s[14:15], s[2:3]
	s_cbranch_execz .LBB0_11
; %bb.10:
	buffer_load_dword v0, off, s[24:27], 0 offset:316 ; 4-byte Folded Reload
	s_waitcnt vmcnt(0)
	v_lshlrev_b32_e32 v0, 4, v0
	ds_write_b128 v0, v[180:183]
	ds_write_b128 v0, v[116:119] offset:48
	ds_write_b128 v0, v[188:191] offset:96
	;; [unrolled: 1-line block ×5, first 2 shown]
.LBB0_11:
	s_or_b64 exec, exec, s[14:15]
	s_waitcnt vmcnt(0) lgkmcnt(0)
	s_barrier
	ds_read_b128 v[196:199], v100
	ds_read_b128 v[184:187], v100 offset:1728
	ds_read_b128 v[36:39], v100 offset:4608
	;; [unrolled: 1-line block ×11, first 2 shown]
	s_and_saveexec_b64 s[14:15], s[2:3]
	s_cbranch_execz .LBB0_13
; %bb.12:
	ds_read_b128 v[180:183], v100 offset:3456
	ds_read_b128 v[116:119], v100 offset:8064
	;; [unrolled: 1-line block ×6, first 2 shown]
.LBB0_13:
	s_or_b64 exec, exec, s[14:15]
	v_mov_b32_e32 v51, 57
	v_mul_lo_u16_sdwa v40, v216, v51 dst_sel:DWORD dst_unused:UNUSED_PAD src0_sel:BYTE_0 src1_sel:DWORD
	v_lshrrev_b16_e32 v50, 10, v40
	v_mul_lo_u16_e32 v40, 18, v50
	v_sub_u16_e32 v40, v216, v40
	v_mov_b32_e32 v58, s5
	v_and_b32_e32 v52, 0xff, v40
	s_movk_i32 s16, 0x50
	v_mov_b32_e32 v57, s4
	v_mad_u64_u32 v[44:45], s[14:15], v52, s16, v[57:58]
	global_load_dwordx4 v[156:159], v[44:45], off offset:288
	global_load_dwordx4 v[168:171], v[44:45], off offset:272
	;; [unrolled: 1-line block ×5, first 2 shown]
	s_waitcnt vmcnt(1) lgkmcnt(9)
	v_mul_f64 v[40:41], v[38:39], v[178:179]
	v_fma_f64 v[64:65], v[36:37], v[176:177], -v[40:41]
	v_mul_f64 v[36:37], v[36:37], v[178:179]
	v_fma_f64 v[42:43], v[38:39], v[176:177], v[36:37]
	s_waitcnt lgkmcnt(7)
	v_mul_f64 v[36:37], v[34:35], v[174:175]
	v_fma_f64 v[66:67], v[32:33], v[172:173], -v[36:37]
	v_mul_f64 v[32:33], v[32:33], v[174:175]
	v_fma_f64 v[76:77], v[34:35], v[172:173], v[32:33]
	s_waitcnt lgkmcnt(5)
	v_mul_f64 v[32:33], v[30:31], v[170:171]
	v_fma_f64 v[40:41], v[28:29], v[168:169], -v[32:33]
	v_mul_f64 v[28:29], v[28:29], v[170:171]
	v_fma_f64 v[46:47], v[30:31], v[168:169], v[28:29]
	s_waitcnt lgkmcnt(3)
	v_mul_f64 v[28:29], v[26:27], v[158:159]
	v_fma_f64 v[78:79], v[24:25], v[156:157], -v[28:29]
	v_mul_f64 v[24:25], v[24:25], v[158:159]
	v_fma_f64 v[208:209], v[26:27], v[156:157], v[24:25]
	s_waitcnt vmcnt(0) lgkmcnt(1)
	v_mul_f64 v[24:25], v[22:23], v[162:163]
	v_fma_f64 v[44:45], v[20:21], v[160:161], -v[24:25]
	v_mul_f64 v[20:21], v[20:21], v[162:163]
	v_fma_f64 v[48:49], v[22:23], v[160:161], v[20:21]
	v_mul_lo_u16_sdwa v20, v56, v51 dst_sel:DWORD dst_unused:UNUSED_PAD src0_sel:BYTE_0 src1_sel:DWORD
	v_lshrrev_b16_e32 v51, 10, v20
	v_mul_lo_u16_e32 v20, 18, v51
	v_sub_u16_e32 v20, v56, v20
	v_and_b32_e32 v53, 0xff, v20
	v_mad_u64_u32 v[24:25], s[14:15], v53, s16, v[57:58]
	global_load_dwordx4 v[140:143], v[24:25], off offset:288
	global_load_dwordx4 v[144:147], v[24:25], off offset:272
	;; [unrolled: 1-line block ×5, first 2 shown]
	s_mov_b32 s14, 0xe38f
	s_mov_b32 s16, 0xe8584caa
	;; [unrolled: 1-line block ×4, first 2 shown]
	s_waitcnt vmcnt(1)
	v_mul_f64 v[20:21], v[18:19], v[166:167]
	v_fma_f64 v[28:29], v[16:17], v[164:165], -v[20:21]
	v_mul_f64 v[16:17], v[16:17], v[166:167]
	v_fma_f64 v[20:21], v[18:19], v[164:165], v[16:17]
	v_mul_f64 v[16:17], v[14:15], v[154:155]
	v_fma_f64 v[32:33], v[12:13], v[152:153], -v[16:17]
	v_mul_f64 v[12:13], v[12:13], v[154:155]
	v_fma_f64 v[34:35], v[14:15], v[152:153], v[12:13]
	;; [unrolled: 4-line block ×4, first 2 shown]
	s_waitcnt vmcnt(0) lgkmcnt(0)
	v_mul_f64 v[4:5], v[2:3], v[150:151]
	v_fma_f64 v[24:25], v[0:1], v[148:149], -v[4:5]
	v_mul_f64 v[0:1], v[0:1], v[150:151]
	v_fma_f64 v[30:31], v[2:3], v[148:149], v[0:1]
	v_mul_u32_u24_sdwa v0, v55, s14 dst_sel:DWORD dst_unused:UNUSED_PAD src0_sel:WORD_0 src1_sel:DWORD
	v_lshrrev_b32_e32 v0, 20, v0
	buffer_store_dword v0, off, s[24:27], 0 offset:264 ; 4-byte Folded Spill
	v_mul_lo_u16_e32 v0, 18, v0
	v_sub_u16_e32 v0, v55, v0
	buffer_store_dword v0, off, s[24:27], 0 offset:268 ; 4-byte Folded Spill
	v_mul_lo_u16_e32 v0, 0x50, v0
	v_add_co_u32_e32 v16, vcc, s4, v0
	v_mov_b32_e32 v0, s5
	v_addc_co_u32_e32 v17, vcc, 0, v0, vcc
	global_load_dwordx4 v[55:58], v[16:17], off offset:288
	global_load_dwordx4 v[80:83], v[16:17], off offset:272
	;; [unrolled: 1-line block ×4, first 2 shown]
	s_mov_b32 s14, s16
	s_waitcnt vmcnt(1)
	v_mul_f64 v[4:5], v[188:189], v[10:11]
	s_waitcnt vmcnt(0)
	v_mul_f64 v[2:3], v[116:117], v[94:95]
	v_mul_f64 v[0:1], v[118:119], v[94:95]
	v_fma_f64 v[6:7], v[118:119], v[92:93], v[2:3]
	v_mul_f64 v[2:3], v[190:191], v[10:11]
	v_fma_f64 v[0:1], v[116:117], v[92:93], -v[0:1]
	v_fma_f64 v[2:3], v[188:189], v[8:9], -v[2:3]
	buffer_store_dword v8, off, s[24:27], 0 offset:352 ; 4-byte Folded Spill
	s_nop 0
	buffer_store_dword v9, off, s[24:27], 0 offset:356 ; 4-byte Folded Spill
	buffer_store_dword v10, off, s[24:27], 0 offset:360 ; 4-byte Folded Spill
	;; [unrolled: 1-line block ×3, first 2 shown]
	v_mul_f64 v[10:11], v[204:205], v[57:58]
	v_fma_f64 v[12:13], v[190:191], v[8:9], v[4:5]
	v_mul_f64 v[4:5], v[202:203], v[82:83]
	v_mul_f64 v[8:9], v[200:201], v[82:83]
	v_fma_f64 v[4:5], v[200:201], v[80:81], -v[4:5]
	buffer_store_dword v80, off, s[24:27], 0 offset:336 ; 4-byte Folded Spill
	s_nop 0
	buffer_store_dword v81, off, s[24:27], 0 offset:340 ; 4-byte Folded Spill
	buffer_store_dword v82, off, s[24:27], 0 offset:344 ; 4-byte Folded Spill
	;; [unrolled: 1-line block ×3, first 2 shown]
	v_fma_f64 v[14:15], v[202:203], v[80:81], v[8:9]
	v_mul_f64 v[8:9], v[206:207], v[57:58]
	v_fma_f64 v[8:9], v[204:205], v[55:56], -v[8:9]
	buffer_store_dword v55, off, s[24:27], 0 offset:320 ; 4-byte Folded Spill
	s_nop 0
	buffer_store_dword v56, off, s[24:27], 0 offset:324 ; 4-byte Folded Spill
	buffer_store_dword v57, off, s[24:27], 0 offset:328 ; 4-byte Folded Spill
	;; [unrolled: 1-line block ×3, first 2 shown]
	global_load_dwordx4 v[116:119], v[16:17], off offset:304
	v_add_f64 v[57:58], v[76:77], -v[208:209]
	s_waitcnt vmcnt(0)
	s_barrier
	v_fma_f64 v[10:11], v[206:207], v[55:56], v[10:11]
	v_add_f64 v[55:56], v[196:197], v[66:67]
	v_mul_f64 v[18:19], v[192:193], v[118:119]
	v_mul_f64 v[16:17], v[194:195], v[118:119]
	v_add_f64 v[188:189], v[55:56], v[78:79]
	v_add_f64 v[55:56], v[66:67], v[78:79]
	v_fma_f64 v[18:19], v[194:195], v[116:117], v[18:19]
	v_fma_f64 v[16:17], v[192:193], v[116:117], -v[16:17]
	v_fma_f64 v[55:56], v[55:56], -0.5, v[196:197]
	v_fma_f64 v[190:191], v[57:58], s[16:17], v[55:56]
	v_fma_f64 v[194:195], v[57:58], s[14:15], v[55:56]
	v_add_f64 v[55:56], v[198:199], v[76:77]
	v_add_f64 v[57:58], v[66:67], -v[78:79]
	v_add_f64 v[200:201], v[55:56], v[208:209]
	v_add_f64 v[55:56], v[76:77], v[208:209]
	v_fma_f64 v[55:56], v[55:56], -0.5, v[198:199]
	v_fma_f64 v[66:67], v[57:58], s[14:15], v[55:56]
	v_fma_f64 v[76:77], v[57:58], s[16:17], v[55:56]
	v_add_f64 v[55:56], v[64:65], v[40:41]
	v_add_f64 v[57:58], v[46:47], -v[48:49]
	v_add_f64 v[78:79], v[55:56], v[44:45]
	v_add_f64 v[55:56], v[40:41], v[44:45]
	v_add_f64 v[40:41], v[40:41], -v[44:45]
	v_fma_f64 v[55:56], v[55:56], -0.5, v[64:65]
	v_fma_f64 v[64:65], v[57:58], s[16:17], v[55:56]
	v_fma_f64 v[57:58], v[57:58], s[14:15], v[55:56]
	v_add_f64 v[55:56], v[42:43], v[46:47]
	v_add_f64 v[46:47], v[46:47], v[48:49]
	;; [unrolled: 1-line block ×3, first 2 shown]
	v_fma_f64 v[42:43], v[46:47], -0.5, v[42:43]
	v_fma_f64 v[46:47], v[40:41], s[14:15], v[42:43]
	v_fma_f64 v[48:49], v[40:41], s[16:17], v[42:43]
	v_add_f64 v[40:41], v[188:189], v[78:79]
	v_add_f64 v[188:189], v[188:189], -v[78:79]
	v_mul_f64 v[42:43], v[46:47], s[16:17]
	v_fma_f64 v[192:193], v[64:65], 0.5, v[42:43]
	v_mul_f64 v[42:43], v[57:58], -0.5
	v_mul_f64 v[64:65], v[64:65], s[14:15]
	v_add_f64 v[44:45], v[190:191], v[192:193]
	v_fma_f64 v[196:197], v[48:49], s[16:17], v[42:43]
	v_fma_f64 v[64:65], v[46:47], 0.5, v[64:65]
	v_mul_f64 v[48:49], v[48:49], -0.5
	v_add_f64 v[42:43], v[200:201], v[198:199]
	v_add_f64 v[192:193], v[190:191], -v[192:193]
	v_add_f64 v[190:191], v[200:201], -v[198:199]
	v_add_f64 v[55:56], v[194:195], v[196:197]
	v_add_f64 v[46:47], v[66:67], v[64:65]
	v_add_f64 v[196:197], v[194:195], -v[196:197]
	v_add_f64 v[194:195], v[66:67], -v[64:65]
	v_add_f64 v[64:65], v[32:33], v[36:37]
	v_fma_f64 v[48:49], v[57:58], s[14:15], v[48:49]
	v_add_f64 v[66:67], v[34:35], -v[38:39]
	v_fma_f64 v[64:65], v[64:65], -0.5, v[184:185]
	v_add_f64 v[57:58], v[76:77], v[48:49]
	v_add_f64 v[198:199], v[76:77], -v[48:49]
	v_add_f64 v[48:49], v[184:185], v[32:33]
	v_add_f64 v[32:33], v[32:33], -v[36:37]
	v_fma_f64 v[76:77], v[66:67], s[16:17], v[64:65]
	v_fma_f64 v[64:65], v[66:67], s[14:15], v[64:65]
	v_add_f64 v[66:67], v[186:187], v[34:35]
	v_add_f64 v[34:35], v[34:35], v[38:39]
	;; [unrolled: 1-line block ×5, first 2 shown]
	v_fma_f64 v[34:35], v[34:35], -0.5, v[186:187]
	v_fma_f64 v[78:79], v[32:33], s[14:15], v[34:35]
	v_fma_f64 v[32:33], v[32:33], s[16:17], v[34:35]
	v_add_f64 v[34:35], v[28:29], v[22:23]
	v_fma_f64 v[28:29], v[36:37], -0.5, v[28:29]
	v_add_f64 v[36:37], v[26:27], -v[30:31]
	v_add_f64 v[22:23], v[22:23], -v[24:25]
	v_add_f64 v[34:35], v[34:35], v[24:25]
	v_fma_f64 v[186:187], v[36:37], s[16:17], v[28:29]
	v_fma_f64 v[28:29], v[36:37], s[14:15], v[28:29]
	v_add_f64 v[36:37], v[20:21], v[26:27]
	v_add_f64 v[26:27], v[26:27], v[30:31]
	v_add_f64 v[204:205], v[48:49], -v[34:35]
	v_add_f64 v[206:207], v[36:37], v[30:31]
	v_fma_f64 v[20:21], v[26:27], -0.5, v[20:21]
	v_mul_f64 v[26:27], v[28:29], -0.5
	v_mul_f64 v[30:31], v[186:187], s[14:15]
	v_add_f64 v[36:37], v[48:49], v[34:35]
	v_add_f64 v[38:39], v[66:67], v[206:207]
	v_fma_f64 v[24:25], v[22:23], s[14:15], v[20:21]
	v_fma_f64 v[20:21], v[22:23], s[16:17], v[20:21]
	v_add_f64 v[206:207], v[66:67], -v[206:207]
	v_mul_f64 v[22:23], v[24:25], s[16:17]
	v_fma_f64 v[26:27], v[20:21], s[16:17], v[26:27]
	v_mul_f64 v[20:21], v[20:21], -0.5
	v_fma_f64 v[24:25], v[24:25], 0.5, v[30:31]
	v_add_f64 v[30:31], v[14:15], -v[18:19]
	v_fma_f64 v[22:23], v[186:187], 0.5, v[22:23]
	v_add_f64 v[200:201], v[64:65], v[26:27]
	v_fma_f64 v[20:21], v[28:29], s[14:15], v[20:21]
	v_add_f64 v[186:187], v[78:79], v[24:25]
	v_add_f64 v[210:211], v[78:79], -v[24:25]
	v_add_f64 v[24:25], v[12:13], -v[10:11]
	;; [unrolled: 1-line block ×4, first 2 shown]
	v_add_f64 v[184:185], v[76:77], v[22:23]
	v_add_f64 v[208:209], v[76:77], -v[22:23]
	v_add_f64 v[202:203], v[32:33], v[20:21]
	v_add_f64 v[214:215], v[32:33], -v[20:21]
	v_add_f64 v[20:21], v[2:3], v[8:9]
	v_fma_f64 v[22:23], v[20:21], -0.5, v[180:181]
	v_fma_f64 v[20:21], v[24:25], s[16:17], v[22:23]
	v_fma_f64 v[22:23], v[24:25], s[14:15], v[22:23]
	v_add_f64 v[24:25], v[12:13], v[10:11]
	v_fma_f64 v[26:27], v[24:25], -0.5, v[182:183]
	v_fma_f64 v[24:25], v[28:29], s[14:15], v[26:27]
	v_fma_f64 v[26:27], v[28:29], s[16:17], v[26:27]
	;; [unrolled: 4-line block ×3, first 2 shown]
	v_add_f64 v[28:29], v[14:15], v[18:19]
	v_add_f64 v[30:31], v[4:5], -v[16:17]
	v_fma_f64 v[28:29], v[28:29], -0.5, v[6:7]
	v_fma_f64 v[48:49], v[30:31], s[14:15], v[28:29]
	v_fma_f64 v[64:65], v[30:31], s[16:17], v[28:29]
	v_mul_f64 v[30:31], v[34:35], -0.5
	v_mul_f64 v[28:29], v[48:49], s[16:17]
	v_fma_f64 v[30:31], v[64:65], s[16:17], v[30:31]
	s_movk_i32 s16, 0x6c
	v_fma_f64 v[28:29], v[32:33], 0.5, v[28:29]
	v_mul_f64 v[32:33], v[32:33], s[14:15]
	v_add_f64 v[244:245], v[22:23], -v[30:31]
	v_add_f64 v[240:241], v[20:21], -v[28:29]
	v_fma_f64 v[32:33], v[48:49], 0.5, v[32:33]
	v_mul_f64 v[48:49], v[64:65], -0.5
	v_add_f64 v[242:243], v[24:25], -v[32:33]
	v_fma_f64 v[34:35], v[34:35], s[14:15], v[48:49]
	v_mul_u32_u24_e32 v48, 0x6c, v50
	v_add_lshl_u32 v103, v48, v52, 4
	ds_write_b128 v103, v[40:43]
	ds_write_b128 v103, v[44:47] offset:288
	ds_write_b128 v103, v[55:58] offset:576
	;; [unrolled: 1-line block ×5, first 2 shown]
	v_mul_u32_u24_e32 v40, 0x6c, v51
	v_add_lshl_u32 v101, v40, v53, 4
	ds_write_b128 v101, v[36:39]
	ds_write_b128 v101, v[184:187] offset:288
	ds_write_b128 v101, v[200:203] offset:576
	;; [unrolled: 1-line block ×5, first 2 shown]
	v_add_f64 v[246:247], v[26:27], -v[34:35]
	s_and_saveexec_b64 s[14:15], s[2:3]
	s_cbranch_execz .LBB0_15
; %bb.14:
	v_add_f64 v[12:13], v[182:183], v[12:13]
	v_add_f64 v[6:7], v[6:7], v[14:15]
	;; [unrolled: 1-line block ×12, first 2 shown]
	v_add_f64 v[10:11], v[12:13], -v[14:15]
	v_add_f64 v[14:15], v[12:13], v[14:15]
	v_add_f64 v[12:13], v[8:9], v[16:17]
	v_add_f64 v[8:9], v[8:9], -v[16:17]
	buffer_load_dword v16, off, s[24:27], 0 offset:264 ; 4-byte Folded Reload
	buffer_load_dword v17, off, s[24:27], 0 offset:268 ; 4-byte Folded Reload
	s_waitcnt vmcnt(0)
	v_mad_legacy_u16 v16, v16, s16, v17
	v_lshlrev_b32_e32 v16, 4, v16
	ds_write_b128 v16, v[240:243] offset:1152
	ds_write_b128 v16, v[4:7] offset:288
	;; [unrolled: 1-line block ×3, first 2 shown]
	ds_write_b128 v16, v[12:15]
	ds_write_b128 v16, v[8:11] offset:864
	ds_write_b128 v16, v[244:247] offset:1440
.LBB0_15:
	s_or_b64 exec, exec, s[14:15]
	v_mov_b32_e32 v53, s5
	s_movk_i32 s14, 0xf0
	v_mov_b32_e32 v52, s4
	v_mad_u64_u32 v[52:53], s[4:5], v216, s14, v[52:53]
	s_waitcnt lgkmcnt(0)
	s_barrier
	ds_read_b128 v[248:251], v100
	ds_read_b128 v[8:11], v100 offset:1728
	ds_read_b128 v[12:15], v100 offset:3456
	;; [unrolled: 1-line block ×15, first 2 shown]
	global_load_dwordx4 v[180:183], v[52:53], off offset:1728
	global_load_dwordx4 v[184:187], v[52:53], off offset:1712
	;; [unrolled: 1-line block ×10, first 2 shown]
	v_mov_b32_e32 v59, v216
	global_load_dwordx4 v[216:219], v[52:53], off offset:1824
	global_load_dwordx4 v[232:235], v[52:53], off offset:1808
	;; [unrolled: 1-line block ×5, first 2 shown]
	s_mov_b32 s4, 0x667f3bcd
	s_mov_b32 s5, 0xbfe6a09e
	;; [unrolled: 1-line block ×12, first 2 shown]
	s_add_u32 s12, s12, 0x6c00
	s_addc_u32 s13, s13, 0
	s_waitcnt vmcnt(11) lgkmcnt(14)
	v_mul_f64 v[64:65], v[10:11], v[206:207]
	s_waitcnt vmcnt(2) lgkmcnt(0)
	v_mul_f64 v[52:53], v[252:253], v[226:227]
	v_fma_f64 v[64:65], v[8:9], v[204:205], -v[64:65]
	v_mul_f64 v[8:9], v[8:9], v[206:207]
	v_fma_f64 v[52:53], v[254:255], v[224:225], v[52:53]
	v_fma_f64 v[66:67], v[10:11], v[204:205], v[8:9]
	v_mul_f64 v[8:9], v[14:15], v[190:191]
	v_mul_f64 v[10:11], v[16:17], v[186:187]
	v_fma_f64 v[76:77], v[12:13], v[188:189], -v[8:9]
	v_mul_f64 v[8:9], v[12:13], v[190:191]
	v_fma_f64 v[10:11], v[18:19], v[184:185], v[10:11]
	v_fma_f64 v[12:13], v[14:15], v[188:189], v[8:9]
	v_mul_f64 v[8:9], v[18:19], v[186:187]
	v_mul_f64 v[14:15], v[22:23], v[182:183]
	;; [unrolled: 1-line block ×3, first 2 shown]
	v_fma_f64 v[8:9], v[16:17], v[184:185], -v[8:9]
	v_fma_f64 v[14:15], v[20:21], v[180:181], -v[14:15]
	v_mul_f64 v[16:17], v[20:21], v[182:183]
	v_mul_f64 v[20:21], v[24:25], v[222:223]
	v_fma_f64 v[18:19], v[24:25], v[220:221], -v[18:19]
	v_mul_f64 v[24:25], v[28:29], v[202:203]
	v_fma_f64 v[16:17], v[22:23], v[180:181], v[16:17]
	v_fma_f64 v[20:21], v[26:27], v[220:221], v[20:21]
	v_mul_f64 v[22:23], v[30:31], v[202:203]
	v_mul_f64 v[26:27], v[34:35], v[198:199]
	v_fma_f64 v[24:25], v[30:31], v[200:201], v[24:25]
	v_mul_f64 v[30:31], v[38:39], v[194:195]
	v_fma_f64 v[22:23], v[28:29], v[200:201], -v[22:23]
	v_fma_f64 v[26:27], v[32:33], v[196:197], -v[26:27]
	v_mul_f64 v[28:29], v[32:33], v[198:199]
	v_mul_f64 v[32:33], v[36:37], v[194:195]
	v_fma_f64 v[30:31], v[36:37], v[192:193], -v[30:31]
	v_mul_f64 v[36:37], v[40:41], v[234:235]
	v_fma_f64 v[28:29], v[34:35], v[196:197], v[28:29]
	v_fma_f64 v[32:33], v[38:39], v[192:193], v[32:33]
	v_mul_f64 v[34:35], v[42:43], v[234:235]
	v_mul_f64 v[38:39], v[46:47], v[218:219]
	v_fma_f64 v[36:37], v[42:43], v[232:233], v[36:37]
	v_mul_f64 v[42:43], v[50:51], v[214:215]
	v_add_f64 v[30:31], v[248:249], -v[30:31]
	v_add_f64 v[52:53], v[28:29], -v[52:53]
	;; [unrolled: 1-line block ×3, first 2 shown]
	v_fma_f64 v[34:35], v[40:41], v[232:233], -v[34:35]
	v_fma_f64 v[38:39], v[44:45], v[216:217], -v[38:39]
	v_mul_f64 v[40:41], v[44:45], v[218:219]
	v_mul_f64 v[44:45], v[48:49], v[214:215]
	v_fma_f64 v[42:43], v[48:49], v[212:213], -v[42:43]
	v_mul_f64 v[48:49], v[55:56], v[210:211]
	v_add_f64 v[36:37], v[66:67], -v[36:37]
	v_fma_f64 v[28:29], v[28:29], 2.0, -v[52:53]
	v_add_f64 v[34:35], v[64:65], -v[34:35]
	v_add_f64 v[38:39], v[76:77], -v[38:39]
	v_fma_f64 v[40:41], v[46:47], v[216:217], v[40:41]
	v_fma_f64 v[44:45], v[50:51], v[212:213], v[44:45]
	s_waitcnt vmcnt(0)
	v_mul_f64 v[50:51], v[6:7], v[238:239]
	v_mul_f64 v[46:47], v[57:58], v[210:211]
	v_fma_f64 v[48:49], v[57:58], v[208:209], v[48:49]
	v_fma_f64 v[57:58], v[250:251], 2.0, -v[32:33]
	v_add_f64 v[42:43], v[8:9], -v[42:43]
	v_fma_f64 v[76:77], v[76:77], 2.0, -v[38:39]
	v_add_f64 v[40:41], v[12:13], -v[40:41]
	v_fma_f64 v[64:65], v[64:65], 2.0, -v[34:35]
	v_fma_f64 v[50:51], v[4:5], v[236:237], -v[50:51]
	v_mul_f64 v[4:5], v[4:5], v[238:239]
	v_fma_f64 v[46:47], v[55:56], v[208:209], -v[46:47]
	v_add_f64 v[48:49], v[16:17], -v[48:49]
	v_fma_f64 v[55:56], v[248:249], 2.0, -v[30:31]
	v_add_f64 v[44:45], v[10:11], -v[44:45]
	v_fma_f64 v[12:13], v[12:13], 2.0, -v[40:41]
	v_fma_f64 v[8:9], v[8:9], 2.0, -v[42:43]
	v_add_f64 v[50:51], v[18:19], -v[50:51]
	v_fma_f64 v[4:5], v[6:7], v[236:237], v[4:5]
	v_mul_f64 v[6:7], v[2:3], v[230:231]
	v_add_f64 v[46:47], v[14:15], -v[46:47]
	v_fma_f64 v[16:17], v[16:17], 2.0, -v[48:49]
	v_add_f64 v[48:49], v[30:31], -v[48:49]
	v_fma_f64 v[66:67], v[66:67], 2.0, -v[36:37]
	v_fma_f64 v[10:11], v[10:11], 2.0, -v[44:45]
	;; [unrolled: 1-line block ×3, first 2 shown]
	v_add_f64 v[4:5], v[20:21], -v[4:5]
	v_fma_f64 v[6:7], v[0:1], v[228:229], -v[6:7]
	v_mul_f64 v[0:1], v[0:1], v[230:231]
	v_fma_f64 v[14:15], v[14:15], 2.0, -v[46:47]
	v_add_f64 v[16:17], v[57:58], -v[16:17]
	v_add_f64 v[46:47], v[32:33], v[46:47]
	v_fma_f64 v[30:31], v[30:31], 2.0, -v[48:49]
	v_add_f64 v[18:19], v[64:65], -v[18:19]
	v_fma_f64 v[20:21], v[20:21], 2.0, -v[4:5]
	v_add_f64 v[6:7], v[22:23], -v[6:7]
	v_fma_f64 v[0:1], v[2:3], v[228:229], v[0:1]
	v_mul_f64 v[2:3], v[254:255], v[226:227]
	v_add_f64 v[14:15], v[55:56], -v[14:15]
	v_fma_f64 v[57:58], v[57:58], 2.0, -v[16:17]
	v_add_f64 v[4:5], v[34:35], -v[4:5]
	v_add_f64 v[52:53], v[42:43], -v[52:53]
	v_fma_f64 v[32:33], v[32:33], 2.0, -v[46:47]
	v_fma_f64 v[22:23], v[22:23], 2.0, -v[6:7]
	v_add_f64 v[0:1], v[24:25], -v[0:1]
	v_fma_f64 v[2:3], v[252:253], v[224:225], -v[2:3]
	v_fma_f64 v[55:56], v[55:56], 2.0, -v[14:15]
	v_add_f64 v[6:7], v[40:41], v[6:7]
	v_add_f64 v[20:21], v[66:67], -v[20:21]
	v_fma_f64 v[64:65], v[64:65], 2.0, -v[18:19]
	v_add_f64 v[50:51], v[36:37], v[50:51]
	v_add_f64 v[22:23], v[76:77], -v[22:23]
	v_fma_f64 v[24:25], v[24:25], 2.0, -v[0:1]
	v_add_f64 v[2:3], v[26:27], -v[2:3]
	v_add_f64 v[0:1], v[38:39], -v[0:1]
	v_fma_f64 v[40:41], v[40:41], 2.0, -v[6:7]
	v_fma_f64 v[34:35], v[34:35], 2.0, -v[4:5]
	v_add_f64 v[28:29], v[10:11], -v[28:29]
	v_fma_f64 v[42:43], v[42:43], 2.0, -v[52:53]
	v_fma_f64 v[76:77], v[76:77], 2.0, -v[22:23]
	v_add_f64 v[24:25], v[12:13], -v[24:25]
	v_fma_f64 v[26:27], v[26:27], 2.0, -v[2:3]
	v_add_f64 v[252:253], v[16:17], v[22:23]
	v_fma_f64 v[38:39], v[38:39], 2.0, -v[0:1]
	v_add_f64 v[2:3], v[44:45], v[2:3]
	v_fma_f64 v[66:67], v[66:67], 2.0, -v[20:21]
	v_fma_f64 v[36:37], v[36:37], 2.0, -v[50:51]
	v_add_f64 v[76:77], v[55:56], -v[76:77]
	v_fma_f64 v[12:13], v[12:13], 2.0, -v[24:25]
	v_add_f64 v[26:27], v[8:9], -v[26:27]
	v_add_f64 v[250:251], v[14:15], -v[24:25]
	v_fma_f64 v[24:25], v[16:17], 2.0, -v[252:253]
	v_fma_f64 v[16:17], v[6:7], s[14:15], v[46:47]
	v_fma_f64 v[10:11], v[10:11], 2.0, -v[28:29]
	v_fma_f64 v[44:45], v[44:45], 2.0, -v[2:3]
	v_fma_f64 v[248:249], v[40:41], s[4:5], v[32:33]
	v_add_f64 v[78:79], v[57:58], -v[12:13]
	v_fma_f64 v[8:9], v[8:9], 2.0, -v[26:27]
	v_fma_f64 v[12:13], v[55:56], 2.0, -v[76:77]
	v_fma_f64 v[22:23], v[14:15], 2.0, -v[250:251]
	v_fma_f64 v[14:15], v[0:1], s[14:15], v[48:49]
	v_fma_f64 v[80:81], v[0:1], s[14:15], v[16:17]
	;; [unrolled: 1-line block ×3, first 2 shown]
	v_fma_f64 v[55:56], v[57:58], 2.0, -v[78:79]
	v_fma_f64 v[57:58], v[38:39], s[4:5], v[30:31]
	v_fma_f64 v[254:255], v[6:7], s[4:5], v[14:15]
	;; [unrolled: 1-line block ×3, first 2 shown]
	v_fma_f64 v[32:33], v[32:33], 2.0, -v[248:249]
	v_fma_f64 v[57:58], v[40:41], s[4:5], v[57:58]
	v_fma_f64 v[40:41], v[46:47], 2.0, -v[80:81]
	v_add_f64 v[46:47], v[64:65], -v[8:9]
	v_fma_f64 v[8:9], v[42:43], s[4:5], v[34:35]
	v_fma_f64 v[38:39], v[48:49], 2.0, -v[254:255]
	v_add_f64 v[48:49], v[66:67], -v[10:11]
	v_fma_f64 v[10:11], v[44:45], s[4:5], v[36:37]
	v_fma_f64 v[82:83], v[2:3], s[4:5], v[14:15]
	v_fma_f64 v[30:31], v[30:31], 2.0, -v[57:58]
	v_fma_f64 v[0:1], v[64:65], 2.0, -v[46:47]
	v_fma_f64 v[44:45], v[44:45], s[4:5], v[8:9]
	v_add_f64 v[64:65], v[18:19], -v[28:29]
	v_fma_f64 v[6:7], v[66:67], 2.0, -v[48:49]
	v_fma_f64 v[42:43], v[42:43], s[14:15], v[10:11]
	v_add_f64 v[66:67], v[20:21], v[26:27]
	v_fma_f64 v[26:27], v[4:5], 2.0, -v[82:83]
	v_add_f64 v[0:1], v[12:13], -v[0:1]
	v_fma_f64 v[10:11], v[34:35], 2.0, -v[44:45]
	v_fma_f64 v[18:19], v[18:19], 2.0, -v[64:65]
	v_add_f64 v[34:35], v[78:79], v[46:47]
	v_fma_f64 v[8:9], v[36:37], 2.0, -v[42:43]
	v_fma_f64 v[16:17], v[20:21], 2.0, -v[66:67]
	v_fma_f64 v[20:21], v[2:3], s[14:15], v[50:51]
	v_fma_f64 v[46:47], v[42:43], s[16:17], v[248:249]
	v_fma_f64 v[4:5], v[12:13], 2.0, -v[0:1]
	v_fma_f64 v[12:13], v[10:11], s[20:21], v[30:31]
	v_add_f64 v[2:3], v[55:56], -v[6:7]
	v_fma_f64 v[14:15], v[8:9], s[20:21], v[32:33]
	v_fma_f64 v[52:53], v[52:53], s[14:15], v[20:21]
	;; [unrolled: 1-line block ×4, first 2 shown]
	v_fma_f64 v[6:7], v[55:56], 2.0, -v[2:3]
	v_fma_f64 v[10:11], v[10:11], s[16:17], v[14:15]
	v_fma_f64 v[28:29], v[50:51], 2.0, -v[52:53]
	v_fma_f64 v[50:51], v[66:67], s[14:15], v[252:253]
	;; [unrolled: 2-line block ×3, first 2 shown]
	v_fma_f64 v[16:17], v[16:17], s[4:5], v[20:21]
	v_fma_f64 v[14:15], v[32:33], 2.0, -v[10:11]
	v_add_f64 v[32:33], v[76:77], -v[48:49]
	v_fma_f64 v[48:49], v[64:65], s[14:15], v[250:251]
	v_fma_f64 v[50:51], v[64:65], s[14:15], v[50:51]
	;; [unrolled: 1-line block ×5, first 2 shown]
	v_fma_f64 v[20:21], v[22:23], 2.0, -v[16:17]
	v_fma_f64 v[36:37], v[76:77], 2.0, -v[32:33]
	v_fma_f64 v[48:49], v[66:67], s[4:5], v[48:49]
	v_fma_f64 v[66:67], v[52:53], s[22:23], v[80:81]
	s_movk_i32 s4, 0x2000
	v_fma_f64 v[22:23], v[24:25], 2.0, -v[18:19]
	v_fma_f64 v[24:25], v[26:27], s[18:19], v[38:39]
	v_fma_f64 v[26:27], v[26:27], s[22:23], v[30:31]
	v_fma_f64 v[55:56], v[250:251], 2.0, -v[48:49]
	v_fma_f64 v[250:251], v[82:83], s[16:17], v[66:67]
	v_fma_f64 v[24:25], v[28:29], s[20:21], v[24:25]
	v_fma_f64 v[30:31], v[40:41], 2.0, -v[26:27]
	v_fma_f64 v[40:41], v[44:45], s[16:17], v[57:58]
	v_fma_f64 v[28:29], v[38:39], 2.0, -v[24:25]
	v_fma_f64 v[38:39], v[78:79], 2.0, -v[34:35]
	v_fma_f64 v[40:41], v[42:43], s[20:21], v[40:41]
	v_fma_f64 v[42:43], v[44:45], s[22:23], v[46:47]
	v_fma_f64 v[44:45], v[57:58], 2.0, -v[40:41]
	v_fma_f64 v[46:47], v[248:249], 2.0, -v[42:43]
	v_fma_f64 v[248:249], v[52:53], s[18:19], v[64:65]
	v_fma_f64 v[57:58], v[252:253], 2.0, -v[50:51]
	v_fma_f64 v[252:253], v[254:255], 2.0, -v[248:249]
	;; [unrolled: 1-line block ×3, first 2 shown]
	ds_write_b128 v100, v[4:7]
	ds_write_b128 v100, v[12:15] offset:1728
	ds_write_b128 v100, v[20:23] offset:3456
	;; [unrolled: 1-line block ×15, first 2 shown]
	v_lshlrev_b32_e32 v18, 4, v59
	s_waitcnt lgkmcnt(0)
	s_barrier
	global_load_dwordx4 v[6:9], v18, s[12:13]
	ds_read_b128 v[0:3], v100
	v_add_co_u32_e32 v4, vcc, s12, v18
	v_mov_b32_e32 v5, s13
	v_addc_co_u32_e32 v5, vcc, 0, v5, vcc
	v_add_co_u32_e32 v14, vcc, s4, v4
	v_addc_co_u32_e32 v15, vcc, 0, v5, vcc
	s_movk_i32 s4, 0x4000
	buffer_store_dword v59, off, s[24:27], 0 offset:116 ; 4-byte Folded Spill
	s_waitcnt vmcnt(1) lgkmcnt(0)
	v_mul_f64 v[10:11], v[2:3], v[8:9]
	v_fma_f64 v[10:11], v[0:1], v[6:7], -v[10:11]
	v_mul_f64 v[0:1], v[0:1], v[8:9]
	v_fma_f64 v[12:13], v[2:3], v[6:7], v[0:1]
	global_load_dwordx4 v[6:9], v[14:15], off offset:1024
	ds_read_b128 v[0:3], v100 offset:9216
	ds_write_b128 v100, v[10:13]
	s_waitcnt vmcnt(0) lgkmcnt(1)
	v_mul_f64 v[10:11], v[2:3], v[8:9]
	v_fma_f64 v[10:11], v[0:1], v[6:7], -v[10:11]
	v_mul_f64 v[0:1], v[0:1], v[8:9]
	v_fma_f64 v[12:13], v[2:3], v[6:7], v[0:1]
	global_load_dwordx4 v[6:9], v54, s[12:13]
	ds_read_b128 v[0:3], v100 offset:18432
	ds_write_b128 v100, v[10:13] offset:9216
	s_waitcnt vmcnt(0) lgkmcnt(1)
	v_mul_f64 v[10:11], v[2:3], v[8:9]
	v_fma_f64 v[10:11], v[0:1], v[6:7], -v[10:11]
	v_mul_f64 v[0:1], v[0:1], v[8:9]
	v_fma_f64 v[12:13], v[2:3], v[6:7], v[0:1]
	global_load_dwordx4 v[6:9], v18, s[12:13] offset:1728
	ds_read_b128 v[0:3], v100 offset:1728
	ds_write_b128 v100, v[10:13] offset:18432
	s_waitcnt vmcnt(0) lgkmcnt(1)
	v_mul_f64 v[10:11], v[2:3], v[8:9]
	v_fma_f64 v[10:11], v[0:1], v[6:7], -v[10:11]
	v_mul_f64 v[0:1], v[0:1], v[8:9]
	v_fma_f64 v[12:13], v[2:3], v[6:7], v[0:1]
	global_load_dwordx4 v[6:9], v[14:15], off offset:2752
	ds_read_b128 v[0:3], v100 offset:10944
	ds_write_b128 v100, v[10:13] offset:1728
	s_waitcnt vmcnt(0) lgkmcnt(1)
	v_mul_f64 v[10:11], v[2:3], v[8:9]
	v_fma_f64 v[10:11], v[0:1], v[6:7], -v[10:11]
	v_mul_f64 v[0:1], v[0:1], v[8:9]
	v_fma_f64 v[12:13], v[2:3], v[6:7], v[0:1]
	v_add_co_u32_e32 v0, vcc, s4, v4
	v_addc_co_u32_e32 v1, vcc, 0, v5, vcc
	ds_read_b128 v[6:9], v100 offset:20160
	s_movk_i32 s4, 0x3000
	ds_write_b128 v100, v[10:13] offset:10944
	global_load_dwordx4 v[10:13], v[0:1], off offset:3776
	s_waitcnt vmcnt(0) lgkmcnt(1)
	v_mul_f64 v[2:3], v[8:9], v[12:13]
	v_fma_f64 v[14:15], v[6:7], v[10:11], -v[2:3]
	v_mul_f64 v[2:3], v[6:7], v[12:13]
	v_fma_f64 v[16:17], v[8:9], v[10:11], v[2:3]
	global_load_dwordx4 v[10:13], v18, s[12:13] offset:3456
	ds_read_b128 v[6:9], v100 offset:3456
	ds_write_b128 v100, v[14:17] offset:20160
	s_waitcnt vmcnt(0) lgkmcnt(1)
	v_mul_f64 v[2:3], v[8:9], v[12:13]
	v_fma_f64 v[14:15], v[6:7], v[10:11], -v[2:3]
	v_mul_f64 v[2:3], v[6:7], v[12:13]
	v_fma_f64 v[16:17], v[8:9], v[10:11], v[2:3]
	v_add_co_u32_e32 v2, vcc, s4, v4
	v_addc_co_u32_e32 v3, vcc, 0, v5, vcc
	global_load_dwordx4 v[10:13], v[2:3], off offset:384
	ds_read_b128 v[6:9], v100 offset:12672
	s_movk_i32 s4, 0x5000
	ds_write_b128 v100, v[14:17] offset:3456
	v_add_co_u32_e32 v18, vcc, s4, v4
	v_addc_co_u32_e32 v19, vcc, 0, v5, vcc
	s_movk_i32 s4, 0x1000
	v_add_co_u32_e32 v20, vcc, s4, v4
	v_addc_co_u32_e32 v21, vcc, 0, v5, vcc
	s_movk_i32 s4, 0x6000
	s_waitcnt vmcnt(0) lgkmcnt(1)
	v_mul_f64 v[14:15], v[8:9], v[12:13]
	v_fma_f64 v[14:15], v[6:7], v[10:11], -v[14:15]
	v_mul_f64 v[6:7], v[6:7], v[12:13]
	v_fma_f64 v[16:17], v[8:9], v[10:11], v[6:7]
	global_load_dwordx4 v[10:13], v[18:19], off offset:1408
	ds_read_b128 v[6:9], v100 offset:21888
	ds_write_b128 v100, v[14:17] offset:12672
	s_waitcnt vmcnt(0) lgkmcnt(1)
	v_mul_f64 v[14:15], v[8:9], v[12:13]
	v_fma_f64 v[14:15], v[6:7], v[10:11], -v[14:15]
	v_mul_f64 v[6:7], v[6:7], v[12:13]
	v_fma_f64 v[16:17], v[8:9], v[10:11], v[6:7]
	global_load_dwordx4 v[10:13], v[20:21], off offset:1088
	ds_read_b128 v[6:9], v100 offset:5184
	ds_write_b128 v100, v[14:17] offset:21888
	;; [unrolled: 8-line block ×6, first 2 shown]
	s_waitcnt vmcnt(0) lgkmcnt(1)
	v_mul_f64 v[2:3], v[8:9], v[12:13]
	v_fma_f64 v[14:15], v[6:7], v[10:11], -v[2:3]
	v_mul_f64 v[2:3], v[6:7], v[12:13]
	v_fma_f64 v[16:17], v[8:9], v[10:11], v[2:3]
	v_add_co_u32_e32 v2, vcc, s4, v4
	v_addc_co_u32_e32 v3, vcc, 0, v5, vcc
	global_load_dwordx4 v[10:13], v[2:3], off offset:768
	ds_read_b128 v[6:9], v100 offset:25344
	ds_write_b128 v100, v[14:17] offset:16128
	s_waitcnt vmcnt(0) lgkmcnt(1)
	v_mul_f64 v[14:15], v[8:9], v[12:13]
	v_fma_f64 v[14:15], v[6:7], v[10:11], -v[14:15]
	v_mul_f64 v[6:7], v[6:7], v[12:13]
	v_fma_f64 v[16:17], v[8:9], v[10:11], v[6:7]
	ds_write_b128 v100, v[14:17] offset:25344
	s_and_saveexec_b64 s[4:5], s[0:1]
	s_cbranch_execz .LBB0_17
; %bb.16:
	v_add_co_u32_e32 v4, vcc, 0x2000, v4
	v_addc_co_u32_e32 v5, vcc, 0, v5, vcc
	global_load_dwordx4 v[10:13], v[4:5], off offset:448
	ds_read_b128 v[6:9], v100 offset:8640
	s_waitcnt vmcnt(0) lgkmcnt(0)
	v_mul_f64 v[4:5], v[8:9], v[12:13]
	v_fma_f64 v[4:5], v[6:7], v[10:11], -v[4:5]
	v_mul_f64 v[6:7], v[6:7], v[12:13]
	v_fma_f64 v[6:7], v[8:9], v[10:11], v[6:7]
	global_load_dwordx4 v[8:11], v[0:1], off offset:1472
	ds_write_b128 v100, v[4:7] offset:8640
	ds_read_b128 v[4:7], v100 offset:17856
	s_waitcnt vmcnt(0) lgkmcnt(0)
	v_mul_f64 v[0:1], v[6:7], v[10:11]
	v_fma_f64 v[12:13], v[4:5], v[8:9], -v[0:1]
	v_mul_f64 v[0:1], v[4:5], v[10:11]
	v_fma_f64 v[14:15], v[6:7], v[8:9], v[0:1]
	global_load_dwordx4 v[0:3], v[2:3], off offset:2496
	ds_read_b128 v[4:7], v100 offset:27072
	ds_write_b128 v100, v[12:15] offset:17856
	s_waitcnt vmcnt(0) lgkmcnt(1)
	v_mul_f64 v[8:9], v[6:7], v[2:3]
	v_mul_f64 v[2:3], v[4:5], v[2:3]
	v_fma_f64 v[8:9], v[4:5], v[0:1], -v[8:9]
	v_fma_f64 v[10:11], v[6:7], v[0:1], v[2:3]
	ds_write_b128 v100, v[8:11] offset:27072
.LBB0_17:
	s_or_b64 exec, exec, s[4:5]
	s_waitcnt lgkmcnt(0)
	s_barrier
	ds_read_b128 v[52:55], v100
	ds_read_b128 v[36:39], v100 offset:1728
	ds_read_b128 v[48:51], v100 offset:18432
	;; [unrolled: 1-line block ×14, first 2 shown]
	s_and_saveexec_b64 s[4:5], s[0:1]
	s_cbranch_execz .LBB0_19
; %bb.18:
	ds_read_b128 v[248:251], v100 offset:8640
	ds_read_b128 v[240:243], v100 offset:17856
	ds_read_b128 v[244:247], v100 offset:27072
.LBB0_19:
	s_or_b64 exec, exec, s[4:5]
	s_waitcnt lgkmcnt(4)
	v_add_f64 v[10:11], v[56:57], v[48:49]
	v_add_f64 v[64:65], v[58:59], -v[50:51]
	s_mov_b32 s4, 0xe8584caa
	s_mov_b32 s5, 0xbfebb67a
	;; [unrolled: 1-line block ×4, first 2 shown]
	v_add_f64 v[8:9], v[52:53], v[56:57]
	s_waitcnt lgkmcnt(0)
	v_fma_f64 v[10:11], v[10:11], -0.5, v[52:53]
	s_barrier
	v_add_f64 v[8:9], v[8:9], v[48:49]
	v_add_f64 v[48:49], v[56:57], -v[48:49]
	v_fma_f64 v[52:53], v[64:65], s[4:5], v[10:11]
	v_fma_f64 v[64:65], v[64:65], s[12:13], v[10:11]
	v_add_f64 v[10:11], v[54:55], v[58:59]
	v_add_f64 v[56:57], v[46:47], -v[42:43]
	v_add_f64 v[10:11], v[10:11], v[50:51]
	v_add_f64 v[50:51], v[58:59], v[50:51]
	v_fma_f64 v[50:51], v[50:51], -0.5, v[54:55]
	v_fma_f64 v[54:55], v[48:49], s[12:13], v[50:51]
	v_fma_f64 v[66:67], v[48:49], s[4:5], v[50:51]
	v_add_f64 v[50:51], v[44:45], v[40:41]
	v_add_f64 v[48:49], v[36:37], v[44:45]
	v_fma_f64 v[50:51], v[50:51], -0.5, v[36:37]
	v_add_f64 v[48:49], v[48:49], v[40:41]
	v_add_f64 v[40:41], v[44:45], -v[40:41]
	v_add_f64 v[44:45], v[26:27], -v[34:35]
	v_fma_f64 v[36:37], v[56:57], s[4:5], v[50:51]
	v_fma_f64 v[56:57], v[56:57], s[12:13], v[50:51]
	v_add_f64 v[50:51], v[38:39], v[46:47]
	v_add_f64 v[50:51], v[50:51], v[42:43]
	;; [unrolled: 1-line block ×3, first 2 shown]
	v_fma_f64 v[42:43], v[42:43], -0.5, v[38:39]
	v_fma_f64 v[38:39], v[40:41], s[12:13], v[42:43]
	v_fma_f64 v[58:59], v[40:41], s[4:5], v[42:43]
	v_add_f64 v[42:43], v[24:25], v[32:33]
	v_add_f64 v[40:41], v[28:29], v[24:25]
	v_add_f64 v[24:25], v[24:25], -v[32:33]
	v_fma_f64 v[42:43], v[42:43], -0.5, v[28:29]
	v_add_f64 v[40:41], v[40:41], v[32:33]
	v_fma_f64 v[28:29], v[44:45], s[4:5], v[42:43]
	v_fma_f64 v[44:45], v[44:45], s[12:13], v[42:43]
	v_add_f64 v[42:43], v[30:31], v[26:27]
	v_add_f64 v[26:27], v[26:27], v[34:35]
	;; [unrolled: 1-line block ×3, first 2 shown]
	v_fma_f64 v[26:27], v[26:27], -0.5, v[30:31]
	v_fma_f64 v[30:31], v[24:25], s[12:13], v[26:27]
	v_fma_f64 v[46:47], v[24:25], s[4:5], v[26:27]
	v_add_f64 v[26:27], v[20:21], v[252:253]
	v_add_f64 v[24:25], v[4:5], v[20:21]
	v_fma_f64 v[4:5], v[26:27], -0.5, v[4:5]
	v_add_f64 v[26:27], v[22:23], -v[254:255]
	v_add_f64 v[24:25], v[24:25], v[252:253]
	v_fma_f64 v[32:33], v[26:27], s[4:5], v[4:5]
	v_fma_f64 v[76:77], v[26:27], s[12:13], v[4:5]
	v_add_f64 v[4:5], v[6:7], v[22:23]
	v_add_f64 v[26:27], v[4:5], v[254:255]
	;; [unrolled: 1-line block ×3, first 2 shown]
	v_add_f64 v[22:23], v[240:241], -v[244:245]
	v_fma_f64 v[4:5], v[4:5], -0.5, v[6:7]
	v_add_f64 v[6:7], v[20:21], -v[252:253]
	v_fma_f64 v[34:35], v[6:7], s[12:13], v[4:5]
	v_fma_f64 v[78:79], v[6:7], s[4:5], v[4:5]
	v_add_f64 v[4:5], v[0:1], v[12:13]
	v_add_f64 v[6:7], v[14:15], -v[18:19]
	v_add_f64 v[252:253], v[4:5], v[16:17]
	v_add_f64 v[4:5], v[12:13], v[16:17]
	v_add_f64 v[12:13], v[12:13], -v[16:17]
	v_fma_f64 v[0:1], v[4:5], -0.5, v[0:1]
	v_fma_f64 v[4:5], v[6:7], s[4:5], v[0:1]
	v_fma_f64 v[0:1], v[6:7], s[12:13], v[0:1]
	v_add_f64 v[6:7], v[2:3], v[14:15]
	v_add_f64 v[254:255], v[6:7], v[18:19]
	;; [unrolled: 1-line block ×4, first 2 shown]
	v_add_f64 v[18:19], v[242:243], -v[246:247]
	v_fma_f64 v[2:3], v[6:7], -0.5, v[2:3]
	v_fma_f64 v[14:15], v[14:15], -0.5, v[248:249]
	v_fma_f64 v[6:7], v[12:13], s[12:13], v[2:3]
	v_fma_f64 v[2:3], v[12:13], s[4:5], v[2:3]
	v_add_f64 v[12:13], v[248:249], v[240:241]
	v_fma_f64 v[16:17], v[18:19], s[4:5], v[14:15]
	v_fma_f64 v[248:249], v[18:19], s[12:13], v[14:15]
	v_add_f64 v[18:19], v[242:243], v[246:247]
	v_add_f64 v[14:15], v[250:251], v[242:243]
	;; [unrolled: 1-line block ×3, first 2 shown]
	v_fma_f64 v[20:21], v[18:19], -0.5, v[250:251]
	v_add_f64 v[14:15], v[14:15], v[246:247]
	v_fma_f64 v[18:19], v[22:23], s[12:13], v[20:21]
	v_fma_f64 v[250:251], v[22:23], s[4:5], v[20:21]
	buffer_load_dword v20, off, s[24:27], 0 offset:288 ; 4-byte Folded Reload
	s_waitcnt vmcnt(0)
	ds_write_b128 v20, v[8:11]
	ds_write_b128 v20, v[52:55] offset:16
	ds_write_b128 v20, v[64:67] offset:32
	buffer_load_dword v8, off, s[24:27], 0 offset:292 ; 4-byte Folded Reload
	s_waitcnt vmcnt(0)
	ds_write_b128 v8, v[48:51]
	ds_write_b128 v8, v[36:39] offset:16
	ds_write_b128 v8, v[56:59] offset:32
	;; [unrolled: 5-line block ×5, first 2 shown]
	s_and_saveexec_b64 s[4:5], s[0:1]
	s_cbranch_execz .LBB0_21
; %bb.20:
	buffer_load_dword v8, off, s[24:27], 0 offset:308 ; 4-byte Folded Reload
	s_waitcnt vmcnt(0)
	v_lshlrev_b32_e32 v8, 4, v8
	ds_write_b128 v8, v[12:15]
	ds_write_b128 v8, v[16:19] offset:16
	ds_write_b128 v8, v[248:251] offset:32
.LBB0_21:
	s_or_b64 exec, exec, s[4:5]
	s_waitcnt lgkmcnt(0)
	s_barrier
	ds_read_b128 v[8:11], v100
	ds_read_b128 v[240:243], v100 offset:1728
	ds_read_b128 v[56:59], v100 offset:4608
	;; [unrolled: 1-line block ×11, first 2 shown]
	s_and_saveexec_b64 s[4:5], s[2:3]
	s_cbranch_execz .LBB0_23
; %bb.22:
	ds_read_b128 v[252:255], v100 offset:3456
	ds_read_b128 v[4:7], v100 offset:8064
	;; [unrolled: 1-line block ×6, first 2 shown]
.LBB0_23:
	s_or_b64 exec, exec, s[4:5]
	s_waitcnt lgkmcnt(9)
	v_mul_f64 v[64:65], v[114:115], v[58:59]
	s_mov_b32 s12, 0xe8584caa
	s_mov_b32 s13, 0xbfebb67a
	;; [unrolled: 1-line block ×4, first 2 shown]
	v_fma_f64 v[64:65], v[112:113], v[56:57], v[64:65]
	v_mul_f64 v[56:57], v[114:115], v[56:57]
	v_fma_f64 v[56:57], v[112:113], v[58:59], -v[56:57]
	s_waitcnt lgkmcnt(7)
	v_mul_f64 v[58:59], v[110:111], v[54:55]
	v_fma_f64 v[58:59], v[108:109], v[52:53], v[58:59]
	v_mul_f64 v[52:53], v[110:111], v[52:53]
	v_fma_f64 v[52:53], v[108:109], v[54:55], -v[52:53]
	s_waitcnt lgkmcnt(5)
	v_mul_f64 v[54:55], v[106:107], v[50:51]
	;; [unrolled: 5-line block ×4, first 2 shown]
	v_fma_f64 v[46:47], v[96:97], v[40:41], v[46:47]
	v_mul_f64 v[40:41], v[98:99], v[40:41]
	v_fma_f64 v[40:41], v[96:97], v[42:43], -v[40:41]
	v_mul_f64 v[42:43], v[62:63], v[38:39]
	v_fma_f64 v[42:43], v[60:61], v[36:37], v[42:43]
	v_mul_f64 v[36:37], v[62:63], v[36:37]
	v_fma_f64 v[60:61], v[60:61], v[38:39], -v[36:37]
	v_mul_f64 v[36:37], v[90:91], v[34:35]
	;; [unrolled: 4-line block ×3, first 2 shown]
	v_fma_f64 v[76:77], v[72:73], v[28:29], v[32:33]
	v_mul_f64 v[28:29], v[74:75], v[28:29]
	v_fma_f64 v[72:73], v[72:73], v[30:31], -v[28:29]
	buffer_load_dword v30, off, s[24:27], 0 offset:272 ; 4-byte Folded Reload
	buffer_load_dword v31, off, s[24:27], 0 offset:276 ; 4-byte Folded Reload
	;; [unrolled: 1-line block ×4, first 2 shown]
	s_waitcnt vmcnt(0) lgkmcnt(0)
	s_barrier
	v_mul_f64 v[28:29], v[32:33], v[26:27]
	v_fma_f64 v[74:75], v[30:31], v[24:25], v[28:29]
	v_mul_f64 v[24:25], v[32:33], v[24:25]
	v_fma_f64 v[78:79], v[30:31], v[26:27], -v[24:25]
	v_mul_f64 v[24:25], v[70:71], v[22:23]
	v_fma_f64 v[80:81], v[68:69], v[20:21], v[24:25]
	v_mul_f64 v[20:21], v[70:71], v[20:21]
	v_fma_f64 v[68:69], v[68:69], v[22:23], -v[20:21]
	;; [unrolled: 4-line block ×4, first 2 shown]
	v_mul_f64 v[0:1], v[126:127], v[14:15]
	v_add_f64 v[2:3], v[52:53], -v[44:45]
	v_fma_f64 v[22:23], v[124:125], v[12:13], v[0:1]
	v_mul_f64 v[0:1], v[126:127], v[12:13]
	v_fma_f64 v[14:15], v[124:125], v[14:15], -v[0:1]
	v_mul_f64 v[0:1], v[122:123], v[18:19]
	v_fma_f64 v[82:83], v[120:121], v[16:17], v[0:1]
	v_mul_f64 v[0:1], v[122:123], v[16:17]
	v_fma_f64 v[18:19], v[120:121], v[18:19], -v[0:1]
	v_mul_f64 v[0:1], v[138:139], v[250:251]
	v_fma_f64 v[12:13], v[136:137], v[248:249], v[0:1]
	v_mul_f64 v[0:1], v[138:139], v[248:249]
	v_fma_f64 v[16:17], v[136:137], v[250:251], -v[0:1]
	v_add_f64 v[0:1], v[8:9], v[58:59]
	v_add_f64 v[28:29], v[0:1], v[50:51]
	v_add_f64 v[0:1], v[58:59], v[50:51]
	v_fma_f64 v[0:1], v[0:1], -0.5, v[8:9]
	v_fma_f64 v[30:31], v[2:3], s[12:13], v[0:1]
	v_fma_f64 v[34:35], v[2:3], s[4:5], v[0:1]
	v_add_f64 v[0:1], v[10:11], v[52:53]
	v_add_f64 v[2:3], v[58:59], -v[50:51]
	v_add_f64 v[38:39], v[0:1], v[44:45]
	v_add_f64 v[0:1], v[52:53], v[44:45]
	v_fma_f64 v[0:1], v[0:1], -0.5, v[10:11]
	v_fma_f64 v[44:45], v[2:3], s[4:5], v[0:1]
	v_fma_f64 v[50:51], v[2:3], s[12:13], v[0:1]
	v_add_f64 v[0:1], v[64:65], v[54:55]
	v_add_f64 v[2:3], v[48:49], -v[40:41]
	v_add_f64 v[32:33], v[0:1], v[46:47]
	v_add_f64 v[0:1], v[54:55], v[46:47]
	v_fma_f64 v[0:1], v[0:1], -0.5, v[64:65]
	v_fma_f64 v[6:7], v[2:3], s[12:13], v[0:1]
	v_fma_f64 v[10:11], v[2:3], s[4:5], v[0:1]
	v_add_f64 v[0:1], v[56:57], v[48:49]
	v_add_f64 v[2:3], v[54:55], -v[46:47]
	v_add_f64 v[52:53], v[0:1], v[40:41]
	v_add_f64 v[0:1], v[48:49], v[40:41]
	v_fma_f64 v[0:1], v[0:1], -0.5, v[56:57]
	v_fma_f64 v[36:37], v[2:3], s[4:5], v[0:1]
	v_fma_f64 v[40:41], v[2:3], s[12:13], v[0:1]
	v_add_f64 v[0:1], v[28:29], v[32:33]
	v_add_f64 v[28:29], v[28:29], -v[32:33]
	v_mul_f64 v[2:3], v[36:37], s[12:13]
	v_mul_f64 v[36:37], v[36:37], 0.5
	v_fma_f64 v[46:47], v[6:7], 0.5, v[2:3]
	v_fma_f64 v[54:55], v[6:7], s[4:5], v[36:37]
	v_mul_f64 v[36:37], v[40:41], -0.5
	v_mul_f64 v[2:3], v[40:41], s[12:13]
	v_add_f64 v[4:5], v[30:31], v[46:47]
	v_add_f64 v[32:33], v[30:31], -v[46:47]
	v_fma_f64 v[40:41], v[10:11], s[4:5], v[36:37]
	v_fma_f64 v[48:49], v[10:11], -0.5, v[2:3]
	v_add_f64 v[2:3], v[38:39], v[52:53]
	v_add_f64 v[30:31], v[38:39], -v[52:53]
	v_add_f64 v[6:7], v[44:45], v[54:55]
	v_add_f64 v[10:11], v[50:51], v[40:41]
	v_add_f64 v[38:39], v[50:51], -v[40:41]
	v_add_f64 v[40:41], v[240:241], v[62:63]
	v_add_f64 v[8:9], v[34:35], v[48:49]
	v_add_f64 v[36:37], v[34:35], -v[48:49]
	v_add_f64 v[34:35], v[44:45], -v[54:55]
	;; [unrolled: 1-line block ×3, first 2 shown]
	v_add_f64 v[52:53], v[40:41], v[74:75]
	v_add_f64 v[40:41], v[62:63], v[74:75]
	v_fma_f64 v[40:41], v[40:41], -0.5, v[240:241]
	v_fma_f64 v[54:55], v[44:45], s[12:13], v[40:41]
	v_fma_f64 v[58:59], v[44:45], s[4:5], v[40:41]
	v_add_f64 v[40:41], v[242:243], v[66:67]
	v_add_f64 v[44:45], v[62:63], -v[74:75]
	v_add_f64 v[84:85], v[40:41], v[78:79]
	v_add_f64 v[40:41], v[66:67], v[78:79]
	v_fma_f64 v[40:41], v[40:41], -0.5, v[242:243]
	v_fma_f64 v[62:63], v[44:45], s[4:5], v[40:41]
	v_fma_f64 v[66:67], v[44:45], s[12:13], v[40:41]
	v_add_f64 v[40:41], v[42:43], v[76:77]
	v_add_f64 v[56:57], v[40:41], v[80:81]
	;; [unrolled: 1-line block ×3, first 2 shown]
	v_fma_f64 v[40:41], v[40:41], -0.5, v[42:43]
	v_add_f64 v[42:43], v[72:73], -v[68:69]
	v_fma_f64 v[46:47], v[42:43], s[12:13], v[40:41]
	v_fma_f64 v[50:51], v[42:43], s[4:5], v[40:41]
	v_add_f64 v[40:41], v[60:61], v[72:73]
	v_add_f64 v[42:43], v[76:77], -v[80:81]
	v_add_f64 v[74:75], v[40:41], v[68:69]
	v_add_f64 v[40:41], v[72:73], v[68:69]
	v_fma_f64 v[40:41], v[40:41], -0.5, v[60:61]
	v_fma_f64 v[60:61], v[42:43], s[4:5], v[40:41]
	v_fma_f64 v[64:65], v[42:43], s[12:13], v[40:41]
	v_add_f64 v[40:41], v[52:53], v[56:57]
	v_add_f64 v[52:53], v[52:53], -v[56:57]
	v_mul_f64 v[42:43], v[60:61], s[12:13]
	v_mul_f64 v[60:61], v[60:61], 0.5
	v_fma_f64 v[68:69], v[46:47], 0.5, v[42:43]
	v_mul_f64 v[42:43], v[64:65], s[12:13]
	v_fma_f64 v[60:61], v[46:47], s[4:5], v[60:61]
	v_mul_f64 v[64:65], v[64:65], -0.5
	v_add_f64 v[44:45], v[54:55], v[68:69]
	v_fma_f64 v[72:73], v[50:51], -0.5, v[42:43]
	v_add_f64 v[46:47], v[62:63], v[60:61]
	v_fma_f64 v[76:77], v[50:51], s[4:5], v[64:65]
	v_add_f64 v[42:43], v[84:85], v[74:75]
	v_add_f64 v[56:57], v[54:55], -v[68:69]
	v_add_f64 v[54:55], v[84:85], -v[74:75]
	v_add_f64 v[48:49], v[58:59], v[72:73]
	v_add_f64 v[64:65], v[58:59], -v[72:73]
	v_add_f64 v[58:59], v[62:63], -v[60:61]
	v_add_f64 v[60:61], v[26:27], v[252:253]
	v_add_f64 v[50:51], v[66:67], v[76:77]
	v_add_f64 v[66:67], v[66:67], -v[76:77]
	v_add_f64 v[62:63], v[70:71], -v[18:19]
	v_add_f64 v[76:77], v[82:83], v[60:61]
	v_add_f64 v[60:61], v[82:83], v[26:27]
	v_add_f64 v[26:27], v[26:27], -v[82:83]
	v_fma_f64 v[60:61], v[60:61], -0.5, v[252:253]
	v_fma_f64 v[78:79], v[62:63], s[12:13], v[60:61]
	v_fma_f64 v[80:81], v[62:63], s[4:5], v[60:61]
	v_add_f64 v[60:61], v[70:71], v[254:255]
	v_add_f64 v[86:87], v[18:19], v[60:61]
	v_add_f64 v[18:19], v[18:19], v[70:71]
	v_add_f64 v[60:61], v[22:23], v[12:13]
	v_fma_f64 v[18:19], v[18:19], -0.5, v[254:255]
	v_fma_f64 v[82:83], v[26:27], s[4:5], v[18:19]
	v_fma_f64 v[18:19], v[26:27], s[12:13], v[18:19]
	v_add_f64 v[26:27], v[22:23], v[24:25]
	v_fma_f64 v[24:25], v[60:61], -0.5, v[24:25]
	v_add_f64 v[60:61], v[14:15], -v[16:17]
	v_add_f64 v[26:27], v[12:13], v[26:27]
	v_add_f64 v[12:13], v[22:23], -v[12:13]
	v_fma_f64 v[70:71], v[60:61], s[12:13], v[24:25]
	v_fma_f64 v[24:25], v[60:61], s[4:5], v[24:25]
	v_add_f64 v[60:61], v[14:15], v[20:21]
	v_add_f64 v[14:15], v[14:15], v[16:17]
	v_add_f64 v[84:85], v[76:77], -v[26:27]
	v_add_f64 v[90:91], v[16:17], v[60:61]
	v_fma_f64 v[14:15], v[14:15], -0.5, v[20:21]
	v_add_f64 v[60:61], v[76:77], v[26:27]
	v_add_f64 v[62:63], v[86:87], v[90:91]
	v_fma_f64 v[16:17], v[12:13], s[4:5], v[14:15]
	v_fma_f64 v[12:13], v[12:13], s[12:13], v[14:15]
	v_add_f64 v[86:87], v[86:87], -v[90:91]
	v_mul_f64 v[14:15], v[16:17], s[12:13]
	v_mul_f64 v[20:21], v[12:13], s[12:13]
	v_mul_f64 v[12:13], v[12:13], -0.5
	v_mul_f64 v[16:17], v[16:17], 0.5
	v_fma_f64 v[14:15], v[70:71], 0.5, v[14:15]
	v_fma_f64 v[20:21], v[24:25], -0.5, v[20:21]
	v_fma_f64 v[12:13], v[24:25], s[4:5], v[12:13]
	v_fma_f64 v[16:17], v[70:71], s[4:5], v[16:17]
	v_add_f64 v[68:69], v[78:79], v[14:15]
	v_add_f64 v[72:73], v[80:81], v[20:21]
	;; [unrolled: 1-line block ×3, first 2 shown]
	v_add_f64 v[98:99], v[18:19], -v[12:13]
	buffer_load_dword v12, off, s[24:27], 0 offset:312 ; 4-byte Folded Reload
	v_add_f64 v[70:71], v[82:83], v[16:17]
	v_add_f64 v[88:89], v[78:79], -v[14:15]
	v_add_f64 v[96:97], v[80:81], -v[20:21]
	;; [unrolled: 1-line block ×3, first 2 shown]
	s_waitcnt vmcnt(0)
	ds_write_b128 v12, v[0:3]
	ds_write_b128 v12, v[4:7] offset:48
	ds_write_b128 v12, v[8:11] offset:96
	ds_write_b128 v12, v[28:31] offset:144
	ds_write_b128 v12, v[32:35] offset:192
	ds_write_b128 v12, v[36:39] offset:240
	ds_write_b128 v102, v[40:43]
	ds_write_b128 v102, v[44:47] offset:48
	ds_write_b128 v102, v[48:51] offset:96
	;; [unrolled: 1-line block ×5, first 2 shown]
	s_and_saveexec_b64 s[4:5], s[2:3]
	s_cbranch_execz .LBB0_25
; %bb.24:
	buffer_load_dword v0, off, s[24:27], 0 offset:316 ; 4-byte Folded Reload
	s_waitcnt vmcnt(0)
	v_lshlrev_b32_e32 v0, 4, v0
	ds_write_b128 v0, v[60:63]
	ds_write_b128 v0, v[68:71] offset:48
	ds_write_b128 v0, v[72:75] offset:96
	;; [unrolled: 1-line block ×5, first 2 shown]
.LBB0_25:
	s_or_b64 exec, exec, s[4:5]
	s_waitcnt lgkmcnt(0)
	s_barrier
	ds_read_b128 v[4:7], v100
	ds_read_b128 v[0:3], v100 offset:1728
	ds_read_b128 v[44:47], v100 offset:4608
	ds_read_b128 v[24:27], v100 offset:6336
	ds_read_b128 v[40:43], v100 offset:9216
	ds_read_b128 v[20:23], v100 offset:10944
	ds_read_b128 v[36:39], v100 offset:13824
	ds_read_b128 v[16:19], v100 offset:15552
	ds_read_b128 v[32:35], v100 offset:18432
	ds_read_b128 v[12:15], v100 offset:20160
	ds_read_b128 v[28:31], v100 offset:23040
	ds_read_b128 v[8:11], v100 offset:24768
	s_and_saveexec_b64 s[4:5], s[2:3]
	s_cbranch_execz .LBB0_27
; %bb.26:
	ds_read_b128 v[60:63], v100 offset:3456
	ds_read_b128 v[68:71], v100 offset:8064
	;; [unrolled: 1-line block ×6, first 2 shown]
.LBB0_27:
	s_or_b64 exec, exec, s[4:5]
	s_waitcnt lgkmcnt(9)
	v_mul_f64 v[48:49], v[178:179], v[46:47]
	s_mov_b32 s4, 0xe8584caa
	s_mov_b32 s5, 0xbfebb67a
	;; [unrolled: 1-line block ×4, first 2 shown]
	s_waitcnt lgkmcnt(0)
	s_barrier
	v_fma_f64 v[48:49], v[176:177], v[44:45], v[48:49]
	v_mul_f64 v[44:45], v[178:179], v[44:45]
	v_fma_f64 v[44:45], v[176:177], v[46:47], -v[44:45]
	v_mul_f64 v[46:47], v[174:175], v[42:43]
	v_fma_f64 v[46:47], v[172:173], v[40:41], v[46:47]
	v_mul_f64 v[40:41], v[174:175], v[40:41]
	v_fma_f64 v[40:41], v[172:173], v[42:43], -v[40:41]
	v_mul_f64 v[42:43], v[170:171], v[38:39]
	;; [unrolled: 4-line block ×9, first 2 shown]
	v_fma_f64 v[76:77], v[148:149], v[8:9], v[12:13]
	v_mul_f64 v[8:9], v[150:151], v[8:9]
	v_fma_f64 v[78:79], v[148:149], v[10:11], -v[8:9]
	v_add_f64 v[8:9], v[4:5], v[46:47]
	v_add_f64 v[16:17], v[8:9], v[38:39]
	v_add_f64 v[8:9], v[46:47], v[38:39]
	v_fma_f64 v[4:5], v[8:9], -0.5, v[4:5]
	v_add_f64 v[8:9], v[40:41], -v[32:33]
	v_fma_f64 v[18:19], v[8:9], s[4:5], v[4:5]
	v_fma_f64 v[22:23], v[8:9], s[12:13], v[4:5]
	v_add_f64 v[4:5], v[6:7], v[40:41]
	v_add_f64 v[26:27], v[4:5], v[32:33]
	;; [unrolled: 1-line block ×3, first 2 shown]
	v_fma_f64 v[4:5], v[4:5], -0.5, v[6:7]
	v_add_f64 v[6:7], v[46:47], -v[38:39]
	v_fma_f64 v[32:33], v[6:7], s[12:13], v[4:5]
	v_fma_f64 v[38:39], v[6:7], s[4:5], v[4:5]
	v_add_f64 v[4:5], v[48:49], v[42:43]
	v_add_f64 v[6:7], v[36:37], -v[28:29]
	v_add_f64 v[20:21], v[4:5], v[34:35]
	v_add_f64 v[4:5], v[42:43], v[34:35]
	v_fma_f64 v[4:5], v[4:5], -0.5, v[48:49]
	v_fma_f64 v[10:11], v[6:7], s[4:5], v[4:5]
	v_fma_f64 v[14:15], v[6:7], s[12:13], v[4:5]
	v_add_f64 v[4:5], v[44:45], v[36:37]
	v_add_f64 v[6:7], v[42:43], -v[34:35]
	v_add_f64 v[40:41], v[4:5], v[28:29]
	v_add_f64 v[4:5], v[36:37], v[28:29]
	v_fma_f64 v[4:5], v[4:5], -0.5, v[44:45]
	v_fma_f64 v[24:25], v[6:7], s[12:13], v[4:5]
	v_fma_f64 v[28:29], v[6:7], s[4:5], v[4:5]
	v_add_f64 v[4:5], v[16:17], v[20:21]
	v_add_f64 v[16:17], v[16:17], -v[20:21]
	v_mul_f64 v[6:7], v[24:25], s[4:5]
	v_mul_f64 v[24:25], v[24:25], 0.5
	v_fma_f64 v[34:35], v[10:11], 0.5, v[6:7]
	v_fma_f64 v[42:43], v[10:11], s[12:13], v[24:25]
	v_mul_f64 v[24:25], v[28:29], -0.5
	v_mul_f64 v[6:7], v[28:29], s[4:5]
	v_add_f64 v[8:9], v[18:19], v[34:35]
	v_add_f64 v[20:21], v[18:19], -v[34:35]
	v_fma_f64 v[28:29], v[14:15], s[12:13], v[24:25]
	v_fma_f64 v[36:37], v[14:15], -0.5, v[6:7]
	v_add_f64 v[6:7], v[26:27], v[40:41]
	v_add_f64 v[18:19], v[26:27], -v[40:41]
	v_add_f64 v[10:11], v[32:33], v[42:43]
	v_add_f64 v[14:15], v[38:39], v[28:29]
	v_add_f64 v[26:27], v[38:39], -v[28:29]
	v_add_f64 v[28:29], v[0:1], v[52:53]
	v_add_f64 v[12:13], v[22:23], v[36:37]
	v_add_f64 v[24:25], v[22:23], -v[36:37]
	v_add_f64 v[22:23], v[32:33], -v[42:43]
	v_add_f64 v[36:37], v[28:29], v[64:65]
	v_add_f64 v[28:29], v[52:53], v[64:65]
	v_fma_f64 v[0:1], v[28:29], -0.5, v[0:1]
	v_add_f64 v[28:29], v[54:55], -v[66:67]
	v_fma_f64 v[38:39], v[28:29], s[4:5], v[0:1]
	v_fma_f64 v[42:43], v[28:29], s[12:13], v[0:1]
	v_add_f64 v[0:1], v[2:3], v[54:55]
	v_add_f64 v[46:47], v[0:1], v[66:67]
	;; [unrolled: 1-line block ×3, first 2 shown]
	v_fma_f64 v[0:1], v[0:1], -0.5, v[2:3]
	v_add_f64 v[2:3], v[52:53], -v[64:65]
	v_fma_f64 v[48:49], v[2:3], s[12:13], v[0:1]
	v_fma_f64 v[52:53], v[2:3], s[4:5], v[0:1]
	v_add_f64 v[0:1], v[30:31], v[56:57]
	v_add_f64 v[2:3], v[58:59], -v[78:79]
	v_add_f64 v[40:41], v[0:1], v[76:77]
	v_add_f64 v[0:1], v[56:57], v[76:77]
	v_fma_f64 v[0:1], v[0:1], -0.5, v[30:31]
	v_fma_f64 v[30:31], v[2:3], s[4:5], v[0:1]
	v_fma_f64 v[34:35], v[2:3], s[12:13], v[0:1]
	v_add_f64 v[0:1], v[50:51], v[58:59]
	v_add_f64 v[2:3], v[56:57], -v[76:77]
	v_add_f64 v[54:55], v[0:1], v[78:79]
	v_add_f64 v[0:1], v[58:59], v[78:79]
	v_fma_f64 v[0:1], v[0:1], -0.5, v[50:51]
	v_fma_f64 v[44:45], v[2:3], s[12:13], v[0:1]
	v_fma_f64 v[50:51], v[2:3], s[4:5], v[0:1]
	v_add_f64 v[0:1], v[36:37], v[40:41]
	v_add_f64 v[36:37], v[36:37], -v[40:41]
	v_mul_f64 v[2:3], v[44:45], s[4:5]
	v_mul_f64 v[44:45], v[44:45], 0.5
	v_fma_f64 v[56:57], v[30:31], 0.5, v[2:3]
	v_mul_f64 v[2:3], v[50:51], s[4:5]
	v_fma_f64 v[64:65], v[30:31], s[12:13], v[44:45]
	v_mul_f64 v[44:45], v[50:51], -0.5
	v_add_f64 v[28:29], v[38:39], v[56:57]
	v_fma_f64 v[58:59], v[34:35], -0.5, v[2:3]
	v_add_f64 v[2:3], v[46:47], v[54:55]
	v_fma_f64 v[50:51], v[34:35], s[12:13], v[44:45]
	v_add_f64 v[30:31], v[48:49], v[64:65]
	v_add_f64 v[40:41], v[38:39], -v[56:57]
	v_add_f64 v[38:39], v[46:47], -v[54:55]
	v_add_f64 v[32:33], v[42:43], v[58:59]
	v_add_f64 v[44:45], v[42:43], -v[58:59]
	v_add_f64 v[34:35], v[52:53], v[50:51]
	v_add_f64 v[42:43], v[48:49], -v[64:65]
	v_add_f64 v[46:47], v[52:53], -v[50:51]
	ds_write_b128 v103, v[4:7]
	ds_write_b128 v103, v[8:11] offset:288
	ds_write_b128 v103, v[12:15] offset:576
	;; [unrolled: 1-line block ×5, first 2 shown]
	ds_write_b128 v101, v[0:3]
	ds_write_b128 v101, v[28:31] offset:288
	ds_write_b128 v101, v[32:35] offset:576
	;; [unrolled: 1-line block ×5, first 2 shown]
	s_and_saveexec_b64 s[14:15], s[2:3]
	s_cbranch_execz .LBB0_29
; %bb.28:
	buffer_load_dword v18, off, s[24:27], 0 offset:352 ; 4-byte Folded Reload
	buffer_load_dword v19, off, s[24:27], 0 offset:356 ; 4-byte Folded Reload
	;; [unrolled: 1-line block ×12, first 2 shown]
	v_mul_f64 v[4:5], v[118:119], v[96:97]
	v_mul_f64 v[12:13], v[118:119], v[98:99]
	v_mul_f64 v[14:15], v[94:95], v[68:69]
	s_movk_i32 s2, 0x6c
	v_fma_f64 v[4:5], v[116:117], v[98:99], -v[4:5]
	v_fma_f64 v[12:13], v[116:117], v[96:97], v[12:13]
	v_fma_f64 v[14:15], v[92:93], v[70:71], -v[14:15]
	s_waitcnt vmcnt(8)
	v_mul_f64 v[0:1], v[20:21], v[72:73]
	s_waitcnt vmcnt(4)
	v_mul_f64 v[2:3], v[28:29], v[84:85]
	v_mul_f64 v[8:9], v[20:21], v[74:75]
	v_mul_f64 v[10:11], v[28:29], v[86:87]
	s_waitcnt vmcnt(0)
	v_mul_f64 v[6:7], v[24:25], v[88:89]
	v_mul_f64 v[16:17], v[24:25], v[90:91]
	v_fma_f64 v[0:1], v[18:19], v[74:75], -v[0:1]
	v_fma_f64 v[2:3], v[26:27], v[86:87], -v[2:3]
	v_fma_f64 v[8:9], v[18:19], v[72:73], v[8:9]
	v_mul_f64 v[18:19], v[94:95], v[70:71]
	v_fma_f64 v[10:11], v[26:27], v[84:85], v[10:11]
	v_fma_f64 v[6:7], v[22:23], v[90:91], -v[6:7]
	v_fma_f64 v[16:17], v[22:23], v[88:89], v[16:17]
	v_add_f64 v[32:33], v[0:1], v[62:63]
	v_add_f64 v[20:21], v[2:3], v[4:5]
	v_add_f64 v[30:31], v[2:3], -v[4:5]
	v_fma_f64 v[18:19], v[92:93], v[68:69], v[18:19]
	v_add_f64 v[24:25], v[10:11], v[12:13]
	v_add_f64 v[26:27], v[10:11], -v[12:13]
	v_add_f64 v[22:23], v[6:7], v[0:1]
	v_add_f64 v[2:3], v[2:3], v[14:15]
	v_add_f64 v[0:1], v[0:1], -v[6:7]
	v_fma_f64 v[20:21], v[20:21], -0.5, v[14:15]
	v_add_f64 v[14:15], v[16:17], v[8:9]
	v_add_f64 v[10:11], v[10:11], v[18:19]
	v_fma_f64 v[24:25], v[24:25], -0.5, v[18:19]
	v_add_f64 v[28:29], v[8:9], -v[16:17]
	v_fma_f64 v[18:19], v[22:23], -0.5, v[62:63]
	v_add_f64 v[22:23], v[6:7], v[32:33]
	v_add_f64 v[4:5], v[4:5], v[2:3]
	v_fma_f64 v[34:35], v[26:27], s[4:5], v[20:21]
	v_fma_f64 v[20:21], v[26:27], s[12:13], v[20:21]
	v_fma_f64 v[14:15], v[14:15], -0.5, v[60:61]
	v_fma_f64 v[6:7], v[30:31], s[12:13], v[24:25]
	v_fma_f64 v[24:25], v[30:31], s[4:5], v[24:25]
	v_add_f64 v[8:9], v[8:9], v[60:61]
	v_mul_f64 v[26:27], v[34:35], -0.5
	v_mul_f64 v[30:31], v[20:21], 0.5
	v_mul_f64 v[2:3], v[20:21], s[4:5]
	v_mul_f64 v[32:33], v[34:35], s[4:5]
	v_fma_f64 v[36:37], v[0:1], s[4:5], v[14:15]
	v_add_f64 v[8:9], v[16:17], v[8:9]
	v_fma_f64 v[34:35], v[28:29], s[4:5], v[18:19]
	v_fma_f64 v[18:19], v[28:29], s[12:13], v[18:19]
	;; [unrolled: 1-line block ×4, first 2 shown]
	v_fma_f64 v[24:25], v[24:25], 0.5, v[2:3]
	v_fma_f64 v[30:31], v[6:7], -0.5, v[32:33]
	v_add_f64 v[32:33], v[12:13], v[10:11]
	v_add_f64 v[10:11], v[22:23], -v[4:5]
	v_add_f64 v[22:23], v[22:23], v[4:5]
	v_fma_f64 v[28:29], v[0:1], s[12:13], v[14:15]
	v_add_f64 v[2:3], v[34:35], -v[20:21]
	v_add_f64 v[14:15], v[34:35], v[20:21]
	v_add_f64 v[16:17], v[36:37], v[24:25]
	v_add_f64 v[4:5], v[36:37], -v[24:25]
	buffer_load_dword v24, off, s[24:27], 0 offset:264 ; 4-byte Folded Reload
	buffer_load_dword v25, off, s[24:27], 0 offset:268 ; 4-byte Folded Reload
	v_add_f64 v[20:21], v[8:9], v[32:33]
	v_add_f64 v[6:7], v[18:19], -v[26:27]
	v_add_f64 v[18:19], v[18:19], v[26:27]
	v_add_f64 v[12:13], v[28:29], v[30:31]
	v_add_f64 v[8:9], v[8:9], -v[32:33]
	v_add_f64 v[0:1], v[28:29], -v[30:31]
	s_waitcnt vmcnt(0)
	v_mad_legacy_u16 v24, v24, s2, v25
	v_lshlrev_b32_e32 v24, 4, v24
	ds_write_b128 v24, v[20:23]
	ds_write_b128 v24, v[16:19] offset:288
	ds_write_b128 v24, v[12:15] offset:576
	;; [unrolled: 1-line block ×5, first 2 shown]
.LBB0_29:
	s_or_b64 exec, exec, s[14:15]
	buffer_load_dword v86, off, s[24:27], 0 offset:92 ; 4-byte Folded Reload
	buffer_load_dword v87, off, s[24:27], 0 offset:96 ; 4-byte Folded Reload
	s_waitcnt vmcnt(0) lgkmcnt(0)
	s_barrier
	ds_read_b128 v[2:5], v100
	ds_read_b128 v[6:9], v100 offset:1728
	ds_read_b128 v[10:13], v100 offset:3456
	;; [unrolled: 1-line block ×13, first 2 shown]
	s_waitcnt lgkmcnt(12)
	v_mul_f64 v[66:67], v[206:207], v[8:9]
	v_mul_f64 v[68:69], v[206:207], v[6:7]
	s_waitcnt lgkmcnt(10)
	v_mul_f64 v[74:75], v[186:187], v[16:17]
	v_mul_f64 v[76:77], v[186:187], v[14:15]
	ds_read_b128 v[58:61], v100 offset:24192
	ds_read_b128 v[62:65], v100 offset:25920
	v_mul_f64 v[70:71], v[190:191], v[12:13]
	v_mul_f64 v[72:73], v[190:191], v[10:11]
	s_waitcnt lgkmcnt(8)
	v_mul_f64 v[78:79], v[198:199], v[32:33]
	v_fma_f64 v[6:7], v[204:205], v[6:7], v[66:67]
	v_fma_f64 v[8:9], v[204:205], v[8:9], -v[68:69]
	v_fma_f64 v[14:15], v[184:185], v[14:15], v[74:75]
	v_fma_f64 v[16:17], v[184:185], v[16:17], -v[76:77]
	v_mul_f64 v[66:67], v[182:183], v[20:21]
	v_mul_f64 v[68:69], v[182:183], v[18:19]
	v_mul_f64 v[74:75], v[202:203], v[28:29]
	v_mul_f64 v[76:77], v[202:203], v[26:27]
	v_fma_f64 v[10:11], v[188:189], v[10:11], v[70:71]
	v_fma_f64 v[12:13], v[188:189], v[12:13], -v[72:73]
	v_mul_f64 v[70:71], v[222:223], v[24:25]
	v_mul_f64 v[72:73], v[222:223], v[22:23]
	v_fma_f64 v[18:19], v[180:181], v[18:19], v[66:67]
	v_fma_f64 v[20:21], v[180:181], v[20:21], -v[68:69]
	v_fma_f64 v[26:27], v[200:201], v[26:27], v[74:75]
	v_fma_f64 v[28:29], v[200:201], v[28:29], -v[76:77]
	s_waitcnt lgkmcnt(7)
	v_mul_f64 v[66:67], v[194:195], v[36:37]
	v_mul_f64 v[68:69], v[194:195], v[34:35]
	s_waitcnt lgkmcnt(5)
	v_mul_f64 v[74:75], v[218:219], v[44:45]
	v_mul_f64 v[76:77], v[218:219], v[42:43]
	;; [unrolled: 1-line block ×3, first 2 shown]
	v_fma_f64 v[22:23], v[220:221], v[22:23], v[70:71]
	v_fma_f64 v[24:25], v[220:221], v[24:25], -v[72:73]
	v_fma_f64 v[30:31], v[196:197], v[30:31], v[78:79]
	v_fma_f64 v[34:35], v[192:193], v[34:35], v[66:67]
	v_fma_f64 v[36:37], v[192:193], v[36:37], -v[68:69]
	v_fma_f64 v[42:43], v[216:217], v[42:43], v[74:75]
	v_fma_f64 v[44:45], v[216:217], v[44:45], -v[76:77]
	s_waitcnt lgkmcnt(3)
	v_mul_f64 v[66:67], v[210:211], v[52:53]
	v_mul_f64 v[68:69], v[210:211], v[50:51]
	s_waitcnt lgkmcnt(1)
	v_mul_f64 v[74:75], v[230:231], v[60:61]
	v_mul_f64 v[76:77], v[230:231], v[58:59]
	v_fma_f64 v[32:33], v[196:197], v[32:33], -v[80:81]
	v_mul_f64 v[70:71], v[234:235], v[40:41]
	v_mul_f64 v[72:73], v[234:235], v[38:39]
	;; [unrolled: 1-line block ×3, first 2 shown]
	v_fma_f64 v[50:51], v[208:209], v[50:51], v[66:67]
	v_fma_f64 v[52:53], v[208:209], v[52:53], -v[68:69]
	v_fma_f64 v[58:59], v[228:229], v[58:59], v[74:75]
	v_fma_f64 v[60:61], v[228:229], v[60:61], -v[76:77]
	v_mul_f64 v[80:81], v[214:215], v[46:47]
	v_add_f64 v[34:35], v[2:3], -v[34:35]
	v_add_f64 v[36:37], v[4:5], -v[36:37]
	;; [unrolled: 1-line block ×8, first 2 shown]
	v_fma_f64 v[38:39], v[232:233], v[38:39], v[70:71]
	v_fma_f64 v[40:41], v[232:233], v[40:41], -v[72:73]
	v_fma_f64 v[46:47], v[212:213], v[46:47], v[78:79]
	v_fma_f64 v[48:49], v[212:213], v[48:49], -v[80:81]
	v_mul_f64 v[70:71], v[238:239], v[56:57]
	v_mul_f64 v[72:73], v[238:239], v[54:55]
	s_waitcnt lgkmcnt(0)
	v_mul_f64 v[78:79], v[226:227], v[64:65]
	v_mul_f64 v[80:81], v[226:227], v[62:63]
	v_fma_f64 v[2:3], v[2:3], 2.0, -v[34:35]
	v_fma_f64 v[4:5], v[4:5], 2.0, -v[36:37]
	v_fma_f64 v[18:19], v[18:19], 2.0, -v[50:51]
	v_fma_f64 v[20:21], v[20:21], 2.0, -v[52:53]
	v_fma_f64 v[10:11], v[10:11], 2.0, -v[42:43]
	v_fma_f64 v[12:13], v[12:13], 2.0, -v[44:45]
	v_fma_f64 v[26:27], v[26:27], 2.0, -v[58:59]
	v_fma_f64 v[28:29], v[28:29], 2.0, -v[60:61]
	v_fma_f64 v[54:55], v[236:237], v[54:55], v[70:71]
	v_fma_f64 v[56:57], v[236:237], v[56:57], -v[72:73]
	v_fma_f64 v[62:63], v[224:225], v[62:63], v[78:79]
	v_fma_f64 v[64:65], v[224:225], v[64:65], -v[80:81]
	v_add_f64 v[18:19], v[2:3], -v[18:19]
	v_add_f64 v[20:21], v[4:5], -v[20:21]
	v_add_f64 v[26:27], v[10:11], -v[26:27]
	v_add_f64 v[28:29], v[12:13], -v[28:29]
	v_add_f64 v[38:39], v[6:7], -v[38:39]
	v_add_f64 v[40:41], v[8:9], -v[40:41]
	v_add_f64 v[54:55], v[22:23], -v[54:55]
	v_add_f64 v[56:57], v[24:25], -v[56:57]
	v_add_f64 v[46:47], v[14:15], -v[46:47]
	v_add_f64 v[48:49], v[16:17], -v[48:49]
	v_add_f64 v[62:63], v[30:31], -v[62:63]
	v_add_f64 v[64:65], v[32:33], -v[64:65]
	v_add_f64 v[52:53], v[34:35], v[52:53]
	v_add_f64 v[50:51], v[36:37], -v[50:51]
	v_add_f64 v[60:61], v[42:43], v[60:61]
	v_add_f64 v[58:59], v[44:45], -v[58:59]
	v_fma_f64 v[2:3], v[2:3], 2.0, -v[18:19]
	v_fma_f64 v[4:5], v[4:5], 2.0, -v[20:21]
	;; [unrolled: 1-line block ×4, first 2 shown]
	v_mad_u64_u32 v[0:1], s[2:3], s10, v86, 0
	v_fma_f64 v[6:7], v[6:7], 2.0, -v[38:39]
	v_fma_f64 v[8:9], v[8:9], 2.0, -v[40:41]
	;; [unrolled: 1-line block ×8, first 2 shown]
	v_add_f64 v[56:57], v[38:39], v[56:57]
	v_add_f64 v[54:55], v[40:41], -v[54:55]
	v_add_f64 v[64:65], v[46:47], v[64:65]
	v_add_f64 v[62:63], v[48:49], -v[62:63]
	s_mov_b32 s2, 0x667f3bcd
	s_mov_b32 s3, 0xbfe6a09e
	;; [unrolled: 1-line block ×4, first 2 shown]
	v_add_f64 v[70:71], v[2:3], -v[10:11]
	v_add_f64 v[72:73], v[4:5], -v[12:13]
	v_fma_f64 v[10:11], v[60:61], s[4:5], v[52:53]
	v_fma_f64 v[12:13], v[58:59], s[4:5], v[50:51]
	v_fma_f64 v[34:35], v[34:35], 2.0, -v[52:53]
	v_fma_f64 v[36:37], v[36:37], 2.0, -v[50:51]
	;; [unrolled: 1-line block ×4, first 2 shown]
	v_add_f64 v[22:23], v[6:7], -v[22:23]
	v_add_f64 v[24:25], v[8:9], -v[24:25]
	v_add_f64 v[30:31], v[14:15], -v[30:31]
	v_add_f64 v[32:33], v[16:17], -v[32:33]
	v_fma_f64 v[38:39], v[38:39], 2.0, -v[56:57]
	v_fma_f64 v[40:41], v[40:41], 2.0, -v[54:55]
	;; [unrolled: 1-line block ×4, first 2 shown]
	v_fma_f64 v[78:79], v[58:59], s[4:5], v[10:11]
	v_fma_f64 v[80:81], v[60:61], s[2:3], v[12:13]
	;; [unrolled: 1-line block ×4, first 2 shown]
	v_fma_f64 v[6:7], v[6:7], 2.0, -v[22:23]
	v_fma_f64 v[8:9], v[8:9], 2.0, -v[24:25]
	;; [unrolled: 1-line block ×4, first 2 shown]
	v_fma_f64 v[66:67], v[42:43], s[2:3], v[34:35]
	v_fma_f64 v[68:69], v[44:45], s[2:3], v[36:37]
	v_add_f64 v[74:75], v[18:19], v[28:29]
	v_add_f64 v[76:77], v[20:21], -v[26:27]
	v_fma_f64 v[26:27], v[2:3], 2.0, -v[70:71]
	v_fma_f64 v[28:29], v[4:5], 2.0, -v[72:73]
	v_fma_f64 v[2:3], v[46:47], s[2:3], v[38:39]
	v_fma_f64 v[4:5], v[48:49], s[2:3], v[40:41]
	v_add_f64 v[82:83], v[22:23], v[32:33]
	v_add_f64 v[84:85], v[24:25], -v[30:31]
	v_fma_f64 v[62:63], v[62:63], s[4:5], v[10:11]
	v_fma_f64 v[64:65], v[64:65], s[2:3], v[12:13]
	;; [unrolled: 1-line block ×4, first 2 shown]
	v_add_f64 v[58:59], v[6:7], -v[14:15]
	v_add_f64 v[60:61], v[8:9], -v[16:17]
	v_fma_f64 v[48:49], v[48:49], s[4:5], v[2:3]
	v_fma_f64 v[46:47], v[46:47], s[2:3], v[4:5]
	v_fma_f64 v[42:43], v[18:19], 2.0, -v[74:75]
	v_fma_f64 v[44:45], v[20:21], 2.0, -v[76:77]
	;; [unrolled: 1-line block ×14, first 2 shown]
	s_mov_b32 s14, 0xa6aea964
	s_mov_b32 s15, 0x3fd87de2
	v_fma_f64 v[22:23], v[12:13], s[2:3], v[42:43]
	v_fma_f64 v[24:25], v[10:11], s[2:3], v[44:45]
	s_mov_b32 s17, 0xbfd87de2
	s_mov_b32 s16, s14
	v_fma_f64 v[30:31], v[16:17], s[16:17], v[52:53]
	v_fma_f64 v[32:33], v[14:15], s[16:17], v[50:51]
	;; [unrolled: 4-line block ×3, first 2 shown]
	v_add_f64 v[2:3], v[26:27], -v[2:3]
	v_add_f64 v[4:5], v[28:29], -v[4:5]
	v_fma_f64 v[10:11], v[10:11], s[4:5], v[22:23]
	v_fma_f64 v[12:13], v[12:13], s[2:3], v[24:25]
	s_mov_b32 s19, 0x3fed906b
	s_mov_b32 s18, s12
	v_fma_f64 v[14:15], v[14:15], s[18:19], v[30:31]
	v_fma_f64 v[16:17], v[16:17], s[12:13], v[32:33]
	;; [unrolled: 1-line block ×6, first 2 shown]
	v_fma_f64 v[18:19], v[26:27], 2.0, -v[2:3]
	v_fma_f64 v[20:21], v[28:29], 2.0, -v[4:5]
	;; [unrolled: 1-line block ×4, first 2 shown]
	v_fma_f64 v[42:43], v[82:83], s[4:5], v[74:75]
	v_fma_f64 v[44:45], v[84:85], s[4:5], v[76:77]
	v_fma_f64 v[30:31], v[52:53], 2.0, -v[14:15]
	v_fma_f64 v[32:33], v[50:51], 2.0, -v[16:17]
	v_fma_f64 v[50:51], v[62:63], s[18:19], v[78:79]
	v_fma_f64 v[52:53], v[64:65], s[18:19], v[80:81]
	v_fma_f64 v[22:23], v[34:35], 2.0, -v[6:7]
	v_fma_f64 v[24:25], v[36:37], 2.0, -v[8:9]
	v_add_f64 v[34:35], v[70:71], v[60:61]
	v_add_f64 v[36:37], v[72:73], -v[58:59]
	v_fma_f64 v[38:39], v[46:47], s[18:19], v[38:39]
	v_fma_f64 v[40:41], v[48:49], s[12:13], v[40:41]
	;; [unrolled: 1-line block ×6, first 2 shown]
	v_fma_f64 v[50:51], v[70:71], 2.0, -v[34:35]
	v_fma_f64 v[52:53], v[72:73], 2.0, -v[36:37]
	;; [unrolled: 1-line block ×8, first 2 shown]
	ds_write_b128 v100, v[18:21]
	ds_write_b128 v100, v[22:25] offset:1728
	ds_write_b128 v100, v[26:29] offset:3456
	;; [unrolled: 1-line block ×15, first 2 shown]
	s_waitcnt lgkmcnt(0)
	s_barrier
	ds_read_b128 v[2:5], v100
	ds_read_b128 v[6:9], v100 offset:1728
	buffer_load_dword v15, off, s[24:27], 0 offset:248 ; 4-byte Folded Reload
	buffer_load_dword v16, off, s[24:27], 0 offset:252 ; 4-byte Folded Reload
	;; [unrolled: 1-line block ×4, first 2 shown]
	v_mov_b32_e32 v24, s7
	s_waitcnt lgkmcnt(1)
	v_mad_u64_u32 v[12:13], s[2:3], s11, v86, v[1:2]
	v_mov_b32_e32 v1, v12
	v_lshlrev_b64 v[0:1], 4, v[0:1]
	v_add_co_u32_e32 v30, vcc, s6, v0
	v_addc_co_u32_e32 v31, vcc, v24, v1, vcc
	s_waitcnt vmcnt(0)
	v_mul_f64 v[10:11], v[17:18], v[4:5]
	v_mul_f64 v[13:14], v[17:18], v[2:3]
	v_fma_f64 v[10:11], v[15:16], v[2:3], v[10:11]
	buffer_load_dword v3, off, s[24:27], 0 offset:116 ; 4-byte Folded Reload
	v_fma_f64 v[12:13], v[15:16], v[4:5], -v[13:14]
	s_waitcnt vmcnt(0)
	v_mad_u64_u32 v[18:19], s[2:3], s8, v3, 0
	s_mov_b32 s2, 0xbda12f68
	s_mov_b32 s3, 0x3f42f684
	v_mov_b32_e32 v2, v19
	v_mad_u64_u32 v[14:15], s[4:5], s9, v3, v[2:3]
	ds_read_b128 v[2:5], v100 offset:9216
	v_mul_f64 v[10:11], v[10:11], s[2:3]
	v_mov_b32_e32 v19, v14
	ds_read_b128 v[14:17], v100 offset:6912
	buffer_load_dword v25, off, s[24:27], 0 offset:76 ; 4-byte Folded Reload
	buffer_load_dword v26, off, s[24:27], 0 offset:80 ; 4-byte Folded Reload
	;; [unrolled: 1-line block ×4, first 2 shown]
	v_mul_f64 v[12:13], v[12:13], s[2:3]
	s_mul_i32 s4, s9, 0x240
	s_mul_hi_u32 s5, s8, 0x240
	s_add_i32 s5, s5, s4
	s_mul_i32 s4, s8, 0x240
	s_lshl_b64 s[4:5], s[4:5], 4
	v_mov_b32_e32 v32, s5
	s_waitcnt vmcnt(0) lgkmcnt(1)
	v_mul_f64 v[20:21], v[27:28], v[4:5]
	v_mul_f64 v[22:23], v[27:28], v[2:3]
	v_fma_f64 v[0:1], v[25:26], v[2:3], v[20:21]
	v_fma_f64 v[2:3], v[25:26], v[4:5], -v[22:23]
	v_lshlrev_b64 v[4:5], 4, v[18:19]
	ds_read_b128 v[18:21], v100 offset:20160
	v_add_co_u32_e32 v4, vcc, v30, v4
	v_addc_co_u32_e32 v5, vcc, v31, v5, vcc
	global_store_dwordx4 v[4:5], v[10:13], off
	ds_read_b128 v[10:13], v100 offset:18432
	buffer_load_dword v34, off, s[24:27], 0 offset:12 ; 4-byte Folded Reload
	buffer_load_dword v35, off, s[24:27], 0 offset:16 ; 4-byte Folded Reload
	;; [unrolled: 1-line block ×5, first 2 shown]
	v_add_co_u32_e32 v28, vcc, s4, v4
	v_addc_co_u32_e32 v29, vcc, v5, v32, vcc
	v_mul_f64 v[0:1], v[0:1], s[2:3]
	v_mul_f64 v[2:3], v[2:3], s[2:3]
	s_waitcnt vmcnt(1) lgkmcnt(0)
	v_mul_f64 v[22:23], v[36:37], v[12:13]
	v_mul_f64 v[24:25], v[36:37], v[10:11]
	s_waitcnt vmcnt(0)
	v_mad_u64_u32 v[26:27], s[6:7], s8, v33, 0
	v_fma_f64 v[4:5], v[34:35], v[10:11], v[22:23]
	v_fma_f64 v[10:11], v[34:35], v[12:13], -v[24:25]
	buffer_load_dword v34, off, s[24:27], 0 offset:28 ; 4-byte Folded Reload
	buffer_load_dword v35, off, s[24:27], 0 offset:32 ; 4-byte Folded Reload
	;; [unrolled: 1-line block ×4, first 2 shown]
	v_mov_b32_e32 v12, v27
	v_mad_u64_u32 v[12:13], s[6:7], s9, v33, v[12:13]
	global_store_dwordx4 v[28:29], v[0:3], off
	v_mov_b32_e32 v27, v12
	v_mul_f64 v[2:3], v[10:11], s[2:3]
	v_lshlrev_b64 v[10:11], 4, v[26:27]
	v_mul_f64 v[0:1], v[4:5], s[2:3]
	s_waitcnt vmcnt(1)
	v_mul_f64 v[22:23], v[36:37], v[8:9]
	v_mul_f64 v[24:25], v[36:37], v[6:7]
	v_fma_f64 v[12:13], v[34:35], v[6:7], v[22:23]
	v_fma_f64 v[22:23], v[34:35], v[8:9], -v[24:25]
	v_add_co_u32_e32 v24, vcc, v30, v10
	ds_read_b128 v[4:7], v100 offset:10944
	v_addc_co_u32_e32 v25, vcc, v31, v11, vcc
	ds_read_b128 v[8:11], v100 offset:12672
	buffer_load_dword v33, off, s[24:27], 0 offset:44 ; 4-byte Folded Reload
	buffer_load_dword v34, off, s[24:27], 0 offset:48 ; 4-byte Folded Reload
	;; [unrolled: 1-line block ×4, first 2 shown]
	s_waitcnt vmcnt(0) lgkmcnt(1)
	v_mul_f64 v[26:27], v[35:36], v[6:7]
	global_store_dwordx4 v[24:25], v[0:3], off
	v_mul_f64 v[24:25], v[35:36], v[4:5]
	v_mul_f64 v[0:1], v[12:13], s[2:3]
	v_mov_b32_e32 v12, 0xffffe2c0
	v_mad_u64_u32 v[12:13], s[6:7], s8, v12, v[28:29]
	buffer_load_dword v28, off, s[24:27], 0 offset:60 ; 4-byte Folded Reload
	buffer_load_dword v29, off, s[24:27], 0 offset:64 ; 4-byte Folded Reload
	;; [unrolled: 1-line block ×4, first 2 shown]
	v_mul_f64 v[2:3], v[22:23], s[2:3]
	v_fma_f64 v[4:5], v[33:34], v[4:5], v[26:27]
	v_fma_f64 v[22:23], v[33:34], v[6:7], -v[24:25]
	s_mul_i32 s6, s9, 0xffffe2c0
	s_sub_i32 s6, s6, s8
	v_add_u32_e32 v13, s6, v13
	s_mul_hi_u32 s7, s8, 0xfffffbec
	s_mul_i32 s6, s9, 0xfffffbec
	global_store_dwordx4 v[12:13], v[0:3], off
	v_add_co_u32_e32 v12, vcc, s4, v12
	v_mul_f64 v[0:1], v[4:5], s[2:3]
	ds_read_b128 v[4:7], v100 offset:3456
	v_mul_f64 v[2:3], v[22:23], s[2:3]
	v_addc_co_u32_e32 v13, vcc, v13, v32, vcc
	s_sub_i32 s7, s7, s8
	s_add_i32 s7, s7, s6
	s_mul_i32 s6, s8, 0xfffffbec
	s_lshl_b64 s[6:7], s[6:7], 4
	s_waitcnt vmcnt(1)
	v_mul_f64 v[24:25], v[30:31], v[20:21]
	v_mul_f64 v[26:27], v[30:31], v[18:19]
	v_mov_b32_e32 v30, s7
	v_fma_f64 v[22:23], v[28:29], v[18:19], v[24:25]
	v_fma_f64 v[24:25], v[28:29], v[20:21], -v[26:27]
	ds_read_b128 v[18:21], v100 offset:5184
	buffer_load_dword v33, off, s[24:27], 0 offset:100 ; 4-byte Folded Reload
	buffer_load_dword v34, off, s[24:27], 0 offset:104 ; 4-byte Folded Reload
	;; [unrolled: 1-line block ×4, first 2 shown]
	v_mul_f64 v[22:23], v[22:23], s[2:3]
	v_mul_f64 v[24:25], v[24:25], s[2:3]
	global_store_dwordx4 v[12:13], v[0:3], off
	v_add_co_u32_e32 v12, vcc, s4, v12
	v_addc_co_u32_e32 v13, vcc, v13, v32, vcc
	global_store_dwordx4 v[12:13], v[22:25], off
	v_add_co_u32_e32 v12, vcc, s6, v12
	v_addc_co_u32_e32 v13, vcc, v13, v30, vcc
	s_waitcnt vmcnt(2) lgkmcnt(1)
	v_mul_f64 v[26:27], v[35:36], v[6:7]
	v_mul_f64 v[28:29], v[35:36], v[4:5]
	v_fma_f64 v[4:5], v[33:34], v[4:5], v[26:27]
	v_fma_f64 v[6:7], v[33:34], v[6:7], -v[28:29]
	buffer_load_dword v26, off, s[24:27], 0 offset:184 ; 4-byte Folded Reload
	buffer_load_dword v27, off, s[24:27], 0 offset:188 ; 4-byte Folded Reload
	;; [unrolled: 1-line block ×4, first 2 shown]
	v_mul_f64 v[0:1], v[4:5], s[2:3]
	v_mul_f64 v[2:3], v[6:7], s[2:3]
	ds_read_b128 v[4:7], v100 offset:21888
	s_waitcnt vmcnt(0)
	v_mul_f64 v[22:23], v[28:29], v[10:11]
	v_mul_f64 v[24:25], v[28:29], v[8:9]
	v_fma_f64 v[22:23], v[26:27], v[8:9], v[22:23]
	v_fma_f64 v[24:25], v[26:27], v[10:11], -v[24:25]
	ds_read_b128 v[8:11], v100 offset:23616
	buffer_load_dword v33, off, s[24:27], 0 offset:216 ; 4-byte Folded Reload
	buffer_load_dword v34, off, s[24:27], 0 offset:220 ; 4-byte Folded Reload
	;; [unrolled: 1-line block ×4, first 2 shown]
	s_waitcnt vmcnt(0) lgkmcnt(1)
	v_mul_f64 v[26:27], v[35:36], v[6:7]
	v_mul_f64 v[28:29], v[35:36], v[4:5]
	global_store_dwordx4 v[12:13], v[0:3], off
	v_add_co_u32_e32 v12, vcc, s4, v12
	v_mul_f64 v[0:1], v[22:23], s[2:3]
	v_mul_f64 v[2:3], v[24:25], s[2:3]
	v_addc_co_u32_e32 v13, vcc, v13, v32, vcc
	v_fma_f64 v[4:5], v[33:34], v[4:5], v[26:27]
	v_fma_f64 v[22:23], v[33:34], v[6:7], -v[28:29]
	buffer_load_dword v33, off, s[24:27], 0 offset:232 ; 4-byte Folded Reload
	buffer_load_dword v34, off, s[24:27], 0 offset:236 ; 4-byte Folded Reload
	buffer_load_dword v35, off, s[24:27], 0 offset:240 ; 4-byte Folded Reload
	buffer_load_dword v36, off, s[24:27], 0 offset:244 ; 4-byte Folded Reload
	s_waitcnt vmcnt(0)
	v_mul_f64 v[24:25], v[35:36], v[20:21]
	v_mul_f64 v[26:27], v[35:36], v[18:19]
	global_store_dwordx4 v[12:13], v[0:3], off
	v_add_co_u32_e32 v12, vcc, s4, v12
	v_mul_f64 v[0:1], v[4:5], s[2:3]
	ds_read_b128 v[4:7], v100 offset:14400
	v_mul_f64 v[2:3], v[22:23], s[2:3]
	v_fma_f64 v[22:23], v[33:34], v[18:19], v[24:25]
	v_fma_f64 v[24:25], v[33:34], v[20:21], -v[26:27]
	ds_read_b128 v[18:21], v100 offset:16128
	buffer_load_dword v33, off, s[24:27], 0 offset:120 ; 4-byte Folded Reload
	buffer_load_dword v34, off, s[24:27], 0 offset:124 ; 4-byte Folded Reload
	;; [unrolled: 1-line block ×4, first 2 shown]
	v_addc_co_u32_e32 v13, vcc, v13, v32, vcc
	global_store_dwordx4 v[12:13], v[0:3], off
	s_nop 0
	v_mul_f64 v[0:1], v[22:23], s[2:3]
	v_mul_f64 v[2:3], v[24:25], s[2:3]
	v_add_co_u32_e32 v12, vcc, s6, v12
	v_addc_co_u32_e32 v13, vcc, v13, v30, vcc
	s_waitcnt vmcnt(1) lgkmcnt(1)
	v_mul_f64 v[26:27], v[35:36], v[6:7]
	v_mul_f64 v[28:29], v[35:36], v[4:5]
	v_fma_f64 v[4:5], v[33:34], v[4:5], v[26:27]
	v_fma_f64 v[6:7], v[33:34], v[6:7], -v[28:29]
	buffer_load_dword v26, off, s[24:27], 0 offset:152 ; 4-byte Folded Reload
	buffer_load_dword v27, off, s[24:27], 0 offset:156 ; 4-byte Folded Reload
	;; [unrolled: 1-line block ×4, first 2 shown]
	s_waitcnt vmcnt(0)
	v_mul_f64 v[22:23], v[28:29], v[10:11]
	v_mul_f64 v[24:25], v[28:29], v[8:9]
	global_store_dwordx4 v[12:13], v[0:3], off
	v_add_co_u32_e32 v12, vcc, s4, v12
	v_mul_f64 v[0:1], v[4:5], s[2:3]
	v_mul_f64 v[2:3], v[6:7], s[2:3]
	v_addc_co_u32_e32 v13, vcc, v13, v32, vcc
	v_fma_f64 v[4:5], v[26:27], v[8:9], v[22:23]
	v_fma_f64 v[6:7], v[26:27], v[10:11], -v[24:25]
	buffer_load_dword v22, off, s[24:27], 0 offset:136 ; 4-byte Folded Reload
	buffer_load_dword v23, off, s[24:27], 0 offset:140 ; 4-byte Folded Reload
	;; [unrolled: 1-line block ×4, first 2 shown]
	s_waitcnt vmcnt(0)
	v_mul_f64 v[8:9], v[24:25], v[16:17]
	global_store_dwordx4 v[12:13], v[0:3], off
	v_mul_f64 v[10:11], v[24:25], v[14:15]
	v_mul_f64 v[0:1], v[4:5], s[2:3]
	;; [unrolled: 1-line block ×3, first 2 shown]
	ds_read_b128 v[4:7], v100 offset:25344
	buffer_load_dword v26, off, s[24:27], 0 offset:168 ; 4-byte Folded Reload
	buffer_load_dword v27, off, s[24:27], 0 offset:172 ; 4-byte Folded Reload
	;; [unrolled: 1-line block ×8, first 2 shown]
	v_fma_f64 v[8:9], v[22:23], v[14:15], v[8:9]
	v_add_co_u32_e32 v12, vcc, s4, v12
	v_fma_f64 v[10:11], v[22:23], v[16:17], -v[10:11]
	v_addc_co_u32_e32 v13, vcc, v13, v32, vcc
	global_store_dwordx4 v[12:13], v[0:3], off
	v_add_co_u32_e32 v12, vcc, s6, v12
	v_mul_f64 v[0:1], v[8:9], s[2:3]
	v_addc_co_u32_e32 v13, vcc, v13, v30, vcc
	v_mul_f64 v[2:3], v[10:11], s[2:3]
	global_store_dwordx4 v[12:13], v[0:3], off
	s_nop 0
	v_add_co_u32_e32 v0, vcc, s4, v12
	v_addc_co_u32_e32 v1, vcc, v13, v32, vcc
	s_waitcnt vmcnt(6) lgkmcnt(1)
	v_mul_f64 v[14:15], v[28:29], v[20:21]
	v_mul_f64 v[16:17], v[28:29], v[18:19]
	s_waitcnt vmcnt(2) lgkmcnt(0)
	v_mul_f64 v[22:23], v[35:36], v[6:7]
	v_mul_f64 v[24:25], v[35:36], v[4:5]
	v_fma_f64 v[8:9], v[26:27], v[18:19], v[14:15]
	v_fma_f64 v[10:11], v[26:27], v[20:21], -v[16:17]
	v_fma_f64 v[14:15], v[33:34], v[4:5], v[22:23]
	v_fma_f64 v[16:17], v[33:34], v[6:7], -v[24:25]
	v_mul_f64 v[4:5], v[8:9], s[2:3]
	v_mul_f64 v[6:7], v[10:11], s[2:3]
	;; [unrolled: 1-line block ×4, first 2 shown]
	global_store_dwordx4 v[0:1], v[4:7], off
	v_add_co_u32_e32 v0, vcc, s4, v0
	v_addc_co_u32_e32 v1, vcc, v1, v32, vcc
	global_store_dwordx4 v[0:1], v[8:11], off
	s_and_b64 exec, exec, s[0:1]
	s_cbranch_execz .LBB0_31
; %bb.30:
	buffer_load_dword v16, off, s[24:27], 0 ; 4-byte Folded Reload
	buffer_load_dword v17, off, s[24:27], 0 offset:4 ; 4-byte Folded Reload
	s_movk_i32 s0, 0x4000
	s_waitcnt vmcnt(1)
	v_add_co_u32_e32 v2, vcc, 0x2000, v16
	s_waitcnt vmcnt(0)
	v_addc_co_u32_e32 v3, vcc, 0, v17, vcc
	global_load_dwordx4 v[2:5], v[2:3], off offset:448
	ds_read_b128 v[6:9], v100 offset:8640
	ds_read_b128 v[10:13], v100 offset:17856
	s_waitcnt vmcnt(0) lgkmcnt(1)
	v_mul_f64 v[14:15], v[8:9], v[4:5]
	v_mul_f64 v[4:5], v[6:7], v[4:5]
	v_fma_f64 v[6:7], v[6:7], v[2:3], v[14:15]
	v_fma_f64 v[4:5], v[2:3], v[8:9], -v[4:5]
	v_mov_b32_e32 v8, s7
	v_mul_f64 v[2:3], v[6:7], s[2:3]
	v_mul_f64 v[4:5], v[4:5], s[2:3]
	v_add_co_u32_e32 v6, vcc, s6, v0
	v_addc_co_u32_e32 v7, vcc, v1, v8, vcc
	v_add_co_u32_e32 v0, vcc, s0, v16
	v_addc_co_u32_e32 v1, vcc, 0, v17, vcc
	global_store_dwordx4 v[6:7], v[2:5], off
	global_load_dwordx4 v[0:3], v[0:1], off offset:1472
	s_movk_i32 s0, 0x6000
	s_waitcnt vmcnt(0) lgkmcnt(0)
	v_mul_f64 v[4:5], v[12:13], v[2:3]
	v_mul_f64 v[2:3], v[10:11], v[2:3]
	v_fma_f64 v[4:5], v[10:11], v[0:1], v[4:5]
	v_fma_f64 v[2:3], v[0:1], v[12:13], -v[2:3]
	v_mov_b32_e32 v12, s5
	v_mul_f64 v[0:1], v[4:5], s[2:3]
	v_mul_f64 v[2:3], v[2:3], s[2:3]
	v_add_co_u32_e32 v4, vcc, s0, v16
	v_addc_co_u32_e32 v5, vcc, 0, v17, vcc
	v_add_co_u32_e32 v8, vcc, s4, v6
	v_addc_co_u32_e32 v9, vcc, v7, v12, vcc
	global_store_dwordx4 v[8:9], v[0:3], off
	global_load_dwordx4 v[0:3], v[4:5], off offset:2496
	ds_read_b128 v[4:7], v100 offset:27072
	s_waitcnt vmcnt(0) lgkmcnt(0)
	v_mul_f64 v[10:11], v[6:7], v[2:3]
	v_mul_f64 v[2:3], v[4:5], v[2:3]
	v_fma_f64 v[4:5], v[4:5], v[0:1], v[10:11]
	v_fma_f64 v[2:3], v[0:1], v[6:7], -v[2:3]
	v_mul_f64 v[0:1], v[4:5], s[2:3]
	v_mul_f64 v[2:3], v[2:3], s[2:3]
	v_add_co_u32_e32 v4, vcc, s4, v8
	v_addc_co_u32_e32 v5, vcc, v9, v12, vcc
	global_store_dwordx4 v[4:5], v[0:3], off
.LBB0_31:
	s_endpgm
	.section	.rodata,"a",@progbits
	.p2align	6, 0x0
	.amdhsa_kernel bluestein_single_back_len1728_dim1_dp_op_CI_CI
		.amdhsa_group_segment_fixed_size 27648
		.amdhsa_private_segment_fixed_size 372
		.amdhsa_kernarg_size 104
		.amdhsa_user_sgpr_count 6
		.amdhsa_user_sgpr_private_segment_buffer 1
		.amdhsa_user_sgpr_dispatch_ptr 0
		.amdhsa_user_sgpr_queue_ptr 0
		.amdhsa_user_sgpr_kernarg_segment_ptr 1
		.amdhsa_user_sgpr_dispatch_id 0
		.amdhsa_user_sgpr_flat_scratch_init 0
		.amdhsa_user_sgpr_private_segment_size 0
		.amdhsa_uses_dynamic_stack 0
		.amdhsa_system_sgpr_private_segment_wavefront_offset 1
		.amdhsa_system_sgpr_workgroup_id_x 1
		.amdhsa_system_sgpr_workgroup_id_y 0
		.amdhsa_system_sgpr_workgroup_id_z 0
		.amdhsa_system_sgpr_workgroup_info 0
		.amdhsa_system_vgpr_workitem_id 0
		.amdhsa_next_free_vgpr 256
		.amdhsa_next_free_sgpr 28
		.amdhsa_reserve_vcc 1
		.amdhsa_reserve_flat_scratch 0
		.amdhsa_float_round_mode_32 0
		.amdhsa_float_round_mode_16_64 0
		.amdhsa_float_denorm_mode_32 3
		.amdhsa_float_denorm_mode_16_64 3
		.amdhsa_dx10_clamp 1
		.amdhsa_ieee_mode 1
		.amdhsa_fp16_overflow 0
		.amdhsa_exception_fp_ieee_invalid_op 0
		.amdhsa_exception_fp_denorm_src 0
		.amdhsa_exception_fp_ieee_div_zero 0
		.amdhsa_exception_fp_ieee_overflow 0
		.amdhsa_exception_fp_ieee_underflow 0
		.amdhsa_exception_fp_ieee_inexact 0
		.amdhsa_exception_int_div_zero 0
	.end_amdhsa_kernel
	.text
.Lfunc_end0:
	.size	bluestein_single_back_len1728_dim1_dp_op_CI_CI, .Lfunc_end0-bluestein_single_back_len1728_dim1_dp_op_CI_CI
                                        ; -- End function
	.section	.AMDGPU.csdata,"",@progbits
; Kernel info:
; codeLenInByte = 21308
; NumSgprs: 32
; NumVgprs: 256
; ScratchSize: 372
; MemoryBound: 0
; FloatMode: 240
; IeeeMode: 1
; LDSByteSize: 27648 bytes/workgroup (compile time only)
; SGPRBlocks: 3
; VGPRBlocks: 63
; NumSGPRsForWavesPerEU: 32
; NumVGPRsForWavesPerEU: 256
; Occupancy: 1
; WaveLimiterHint : 1
; COMPUTE_PGM_RSRC2:SCRATCH_EN: 1
; COMPUTE_PGM_RSRC2:USER_SGPR: 6
; COMPUTE_PGM_RSRC2:TRAP_HANDLER: 0
; COMPUTE_PGM_RSRC2:TGID_X_EN: 1
; COMPUTE_PGM_RSRC2:TGID_Y_EN: 0
; COMPUTE_PGM_RSRC2:TGID_Z_EN: 0
; COMPUTE_PGM_RSRC2:TIDIG_COMP_CNT: 0
	.type	__hip_cuid_130fe253219fe2c1,@object ; @__hip_cuid_130fe253219fe2c1
	.section	.bss,"aw",@nobits
	.globl	__hip_cuid_130fe253219fe2c1
__hip_cuid_130fe253219fe2c1:
	.byte	0                               ; 0x0
	.size	__hip_cuid_130fe253219fe2c1, 1

	.ident	"AMD clang version 19.0.0git (https://github.com/RadeonOpenCompute/llvm-project roc-6.4.0 25133 c7fe45cf4b819c5991fe208aaa96edf142730f1d)"
	.section	".note.GNU-stack","",@progbits
	.addrsig
	.addrsig_sym __hip_cuid_130fe253219fe2c1
	.amdgpu_metadata
---
amdhsa.kernels:
  - .args:
      - .actual_access:  read_only
        .address_space:  global
        .offset:         0
        .size:           8
        .value_kind:     global_buffer
      - .actual_access:  read_only
        .address_space:  global
        .offset:         8
        .size:           8
        .value_kind:     global_buffer
      - .actual_access:  read_only
        .address_space:  global
        .offset:         16
        .size:           8
        .value_kind:     global_buffer
      - .actual_access:  read_only
        .address_space:  global
        .offset:         24
        .size:           8
        .value_kind:     global_buffer
      - .actual_access:  read_only
        .address_space:  global
        .offset:         32
        .size:           8
        .value_kind:     global_buffer
      - .offset:         40
        .size:           8
        .value_kind:     by_value
      - .address_space:  global
        .offset:         48
        .size:           8
        .value_kind:     global_buffer
      - .address_space:  global
        .offset:         56
        .size:           8
        .value_kind:     global_buffer
      - .address_space:  global
        .offset:         64
        .size:           8
        .value_kind:     global_buffer
      - .address_space:  global
        .offset:         72
        .size:           8
        .value_kind:     global_buffer
      - .offset:         80
        .size:           4
        .value_kind:     by_value
      - .address_space:  global
        .offset:         88
        .size:           8
        .value_kind:     global_buffer
      - .address_space:  global
        .offset:         96
        .size:           8
        .value_kind:     global_buffer
    .group_segment_fixed_size: 27648
    .kernarg_segment_align: 8
    .kernarg_segment_size: 104
    .language:       OpenCL C
    .language_version:
      - 2
      - 0
    .max_flat_workgroup_size: 108
    .name:           bluestein_single_back_len1728_dim1_dp_op_CI_CI
    .private_segment_fixed_size: 372
    .sgpr_count:     32
    .sgpr_spill_count: 0
    .symbol:         bluestein_single_back_len1728_dim1_dp_op_CI_CI.kd
    .uniform_work_group_size: 1
    .uses_dynamic_stack: false
    .vgpr_count:     256
    .vgpr_spill_count: 92
    .wavefront_size: 64
amdhsa.target:   amdgcn-amd-amdhsa--gfx906
amdhsa.version:
  - 1
  - 2
...

	.end_amdgpu_metadata
